;; amdgpu-corpus repo=ROCm/aiter kind=harvested arch=n/a opt=n/a

/root/src/amdgpu-assembly/repos/ROCm__aiter/hsa/gfx942/fmoe_2stages/fmoe_stage1_bf16_pertokenInt8_g1u1_64x128_2tg_pf3.co:	file format elf64-amdgpu

Disassembly of section .text:

0000000000002a00 <_ZN5aiter49fmoe_stage1_bf16_pertokenInt8_g1u1_64x128_2tg_pf3E>:
	s_and_b32 s1, s1, 0xffff                                   // 000000002A00: 8601FF01 0000FFFF
	s_load_dwordx2 s[8:9], s[0:1], 0x0                         // 000000002A08: C0060200 00000000
	s_load_dwordx2 s[20:21], s[0:1], 0x10                      // 000000002A10: C0060500 00000010
	s_load_dwordx2 s[24:25], s[0:1], 0x20                      // 000000002A18: C0060600 00000020
	s_load_dwordx2 s[48:49], s[0:1], 0x30                      // 000000002A20: C0060C00 00000030
	s_load_dwordx2 s[28:29], s[0:1], 0x40                      // 000000002A28: C0060700 00000040
	s_load_dwordx2 s[32:33], s[0:1], 0x50                      // 000000002A30: C0060800 00000050
	s_load_dwordx2 s[36:37], s[0:1], 0x60                      // 000000002A38: C0060900 00000060
	s_load_dwordx2 s[12:13], s[0:1], 0x70                      // 000000002A40: C0060300 00000070
	s_load_dwordx2 s[44:45], s[0:1], 0x80                      // 000000002A48: C0060B00 00000080
	s_mov_b32 s89, 0                                           // 000000002A50: BED90080
	s_load_dword s64, s[0:1], 0x90                             // 000000002A54: C0021000 00000090
	s_load_dword s65, s[0:1], 0xa0                             // 000000002A5C: C0021040 000000A0
	s_load_dword s66, s[0:1], 0xb0                             // 000000002A64: C0021080 000000B0
	s_load_dword s67, s[0:1], 0xc0                             // 000000002A6C: C00210C0 000000C0
	s_load_dword s68, s[0:1], 0xd0                             // 000000002A74: C0021100 000000D0
	s_load_dword s69, s[0:1], 0xe0                             // 000000002A7C: C0021140 000000E0
	s_load_dword s71, s[0:1], 0xf0                             // 000000002A84: C00211C0 000000F0
	s_load_dword s72, s[0:1], 0x100                            // 000000002A8C: C0021200 00000100
	s_load_dword s74, s[0:1], 0x110                            // 000000002A94: C0021280 00000110
	s_load_dword s76, s[0:1], 0x120                            // 000000002A9C: C0021300 00000120
	s_load_dword s56, s[0:1], 0x130                            // 000000002AA4: C0020E00 00000130
	s_load_dword s88, s[0:1], 0x140                            // 000000002AAC: C0021600 00000140
	s_load_dword s89, s[0:1], 0x150                            // 000000002AB4: C0021640 00000150
	v_lshrrev_b32_e32 v1, 10, v0                               // 000000002ABC: 2002008A
	v_lshrrev_b32_e32 v2, 10, v1                               // 000000002AC0: 2004028A
	v_and_b32_e32 v2, 0x3ff, v2                                // 000000002AC4: 260404FF 000003FF
	v_and_b32_e32 v1, 0x3ff, v1                                // 000000002ACC: 260202FF 000003FF
	v_and_b32_e32 v0, 0x3ff, v0                                // 000000002AD4: 260000FF 000003FF
	v_lshrrev_b32_e32 v3, 6, v0                                // 000000002ADC: 20060086
	v_and_b32_e32 v0, 63, v0                                   // 000000002AE0: 260000BF
	s_mov_b32 s2, s2                                           // 000000002AE4: BE820002
	s_mov_b32 s3, s3                                           // 000000002AE8: BE830003
	s_mov_b32 s4, s4                                           // 000000002AEC: BE840004
	v_readfirstlane_b32 s7, v3                                 // 000000002AF0: 7E0E0503
	s_waitcnt lgkmcnt(0)                                       // 000000002AF4: BF8CC07F
	s_and_b32 s49, s49, 0xffff                                 // 000000002AF8: 8631FF31 0000FFFF
	s_load_dword s48, s[48:49], 0x0                            // 000000002B00: C0020C18 00000000
	s_and_b32 s45, s45, 0xffff                                 // 000000002B08: 862DFF2D 0000FFFF
	s_and_b32 s9, s9, 0xffff                                   // 000000002B10: 8609FF09 0000FFFF
	s_mul_i32 s60, s66, s68                                    // 000000002B18: 923C4442
	s_mul_i32 s61, s66, 4                                      // 000000002B1C: 923D8442
	s_mov_b32 s22, s60                                         // 000000002B20: BE96003C
	s_mov_b32 s26, -16                                         // 000000002B24: BE9A00D0
	s_mov_b32 s30, s61                                         // 000000002B28: BE9E003D
	s_mov_b32 s14, 0x100                                       // 000000002B2C: BE8E00FF 00000100
	s_mov_b32 s38, -16                                         // 000000002B34: BEA600D0
	s_mov_b32 s10, -16                                         // 000000002B38: BE8A00D0
	s_mov_b32 s34, 0x200                                       // 000000002B3C: BEA200FF 00000200
	s_mov_b32 s23, 0x20000                                     // 000000002B44: BE9700FF 00020000
	s_mov_b32 s27, 0x20000                                     // 000000002B4C: BE9B00FF 00020000
	s_mov_b32 s31, 0x20000                                     // 000000002B54: BE9F00FF 00020000
	s_mov_b32 s35, 0x20000                                     // 000000002B5C: BEA300FF 00020000
	s_mov_b32 s15, 0x20000                                     // 000000002B64: BE8F00FF 00020000
	s_mov_b32 s39, 0x20000                                     // 000000002B6C: BEA700FF 00020000
	s_mov_b32 s11, 0x20000                                     // 000000002B74: BE8B00FF 00020000
	s_and_b32 s21, s21, 0xffff                                 // 000000002B7C: 8615FF15 0000FFFF
	s_and_b32 s25, s25, 0xffff                                 // 000000002B84: 8619FF19 0000FFFF
	s_and_b32 s29, s29, 0xffff                                 // 000000002B8C: 861DFF1D 0000FFFF
	s_and_b32 s33, s33, 0xffff                                 // 000000002B94: 8621FF21 0000FFFF
	s_and_b32 s13, s13, 0xffff                                 // 000000002B9C: 860DFF0D 0000FFFF
	s_and_b32 s37, s37, 0xffff                                 // 000000002BA4: 8625FF25 0000FFFF
	s_or_b32 s21, s21, 0x40000                                 // 000000002BAC: 8715FF15 00040000
	s_or_b32 s25, s25, 0x40000                                 // 000000002BB4: 8719FF19 00040000
	s_or_b32 s29, s29, 0x40000                                 // 000000002BBC: 871DFF1D 00040000
	s_or_b32 s33, s33, 0x40000                                 // 000000002BC4: 8721FF21 00040000
	s_or_b32 s13, s13, 0x40000                                 // 000000002BCC: 870DFF0D 00040000
	s_or_b32 s37, s37, 0x40000                                 // 000000002BD4: 8725FF25 00040000
	v_accvgpr_write_b32 a111, 0                                // 000000002BDC: D3D9406F 18000080
	v_mov_b32_e32 v119, 0                                      // 000000002BE4: 7EEE0280
	s_waitcnt lgkmcnt(0)                                       // 000000002BE8: BF8CC07F
	s_mul_i32 s60, s3, 64                                      // 000000002BEC: 923CC003
	s_cmp_lt_i32 s60, s48                                      // 000000002BF0: BF04303C
	s_cbranch_scc0 label_204C                                  // 000000002BF4: BF841FCB
	s_mov_b32 s80, 0                                           // 000000002BF8: BED00080
	s_lshr_b32 s81, s64, s88                                   // 000000002BFC: 8F515840
	s_mul_i32 s60, s3, 4                                       // 000000002C00: 923C8403
	s_add_u32 s44, s60, s44                                    // 000000002C04: 802C2C3C
	s_addc_u32 s45, 0, s45                                     // 000000002C08: 822D2D80
	s_load_dword s5, s[44:45], 0x0                             // 000000002C0C: C0020156 00000000
	s_mul_i32 s60, s3, 64                                      // 000000002C14: 923CC003
	s_mul_i32 s60, 4, s60                                      // 000000002C18: 923C3C84
	s_add_u32 s12, s60, s12                                    // 000000002C1C: 800C0C3C
	s_addc_u32 s13, 0, s13                                     // 000000002C20: 820D0D80
	v_and_b32_e32 v4, 15, v0                                   // 000000002C24: 2608008F
	v_lshlrev_b32_e32 v4, 2, v4                                // 000000002C28: 24080882
	buffer_load_dword v30, v4, s[12:15], 0 offen               // 000000002C2C: E0501000 80031E04
	v_add_u32_e32 v4, 64, v4                                   // 000000002C34: 680808C0
	buffer_load_dword v31, v4, s[12:15], 0 offen               // 000000002C38: E0501000 80031F04
	v_add_u32_e32 v4, 64, v4                                   // 000000002C40: 680808C0
	buffer_load_dword v32, v4, s[12:15], 0 offen               // 000000002C44: E0501000 80032004
	v_add_u32_e32 v4, 64, v4                                   // 000000002C4C: 680808C0
	buffer_load_dword v33, v4, s[12:15], 0 offen               // 000000002C50: E0501000 80032104
	v_add_u32_e32 v4, 64, v4                                   // 000000002C58: 680808C0
	s_mul_i32 s60, 4, s7                                       // 000000002C5C: 923C0784
	v_lshlrev_b32_e32 v4, 4, v0                                // 000000002C60: 24080084
	v_add_u32_e32 v4, s60, v4                                  // 000000002C64: 6808083C
	buffer_load_dword v3, v4, s[12:15], 0 offen                // 000000002C68: E0501000 80030304
	v_mov_b32_e32 v56, 0                                       // 000000002C70: 7E700280
	v_mov_b32_e32 v88, 0                                       // 000000002C74: 7EB00280
	v_mov_b32_e32 v57, 0                                       // 000000002C78: 7E720280
	v_mov_b32_e32 v89, 0                                       // 000000002C7C: 7EB20280
	v_mov_b32_e32 v58, 0                                       // 000000002C80: 7E740280
	v_mov_b32_e32 v90, 0                                       // 000000002C84: 7EB40280
	v_mov_b32_e32 v59, 0                                       // 000000002C88: 7E760280
	v_mov_b32_e32 v91, 0                                       // 000000002C8C: 7EB60280
	v_mov_b32_e32 v60, 0                                       // 000000002C90: 7E780280
	v_mov_b32_e32 v92, 0                                       // 000000002C94: 7EB80280
	v_mov_b32_e32 v61, 0                                       // 000000002C98: 7E7A0280
	v_mov_b32_e32 v93, 0                                       // 000000002C9C: 7EBA0280
	v_mov_b32_e32 v62, 0                                       // 000000002CA0: 7E7C0280
	v_mov_b32_e32 v94, 0                                       // 000000002CA4: 7EBC0280
	v_mov_b32_e32 v63, 0                                       // 000000002CA8: 7E7E0280
	v_mov_b32_e32 v95, 0                                       // 000000002CAC: 7EBE0280
	v_mov_b32_e32 v64, 0                                       // 000000002CB0: 7E800280
	v_mov_b32_e32 v96, 0                                       // 000000002CB4: 7EC00280
	v_mov_b32_e32 v65, 0                                       // 000000002CB8: 7E820280
	v_mov_b32_e32 v97, 0                                       // 000000002CBC: 7EC20280
	v_mov_b32_e32 v66, 0                                       // 000000002CC0: 7E840280
	v_mov_b32_e32 v98, 0                                       // 000000002CC4: 7EC40280
	v_mov_b32_e32 v67, 0                                       // 000000002CC8: 7E860280
	v_mov_b32_e32 v99, 0                                       // 000000002CCC: 7EC60280
	v_mov_b32_e32 v68, 0                                       // 000000002CD0: 7E880280
	v_mov_b32_e32 v100, 0                                      // 000000002CD4: 7EC80280
	v_mov_b32_e32 v69, 0                                       // 000000002CD8: 7E8A0280
	v_mov_b32_e32 v101, 0                                      // 000000002CDC: 7ECA0280
	v_mov_b32_e32 v70, 0                                       // 000000002CE0: 7E8C0280
	v_mov_b32_e32 v102, 0                                      // 000000002CE4: 7ECC0280
	v_mov_b32_e32 v71, 0                                       // 000000002CE8: 7E8E0280
	v_mov_b32_e32 v103, 0                                      // 000000002CEC: 7ECE0280
	v_mov_b32_e32 v72, 0                                       // 000000002CF0: 7E900280
	v_mov_b32_e32 v104, 0                                      // 000000002CF4: 7ED00280
	v_mov_b32_e32 v73, 0                                       // 000000002CF8: 7E920280
	v_mov_b32_e32 v105, 0                                      // 000000002CFC: 7ED20280
	v_mov_b32_e32 v74, 0                                       // 000000002D00: 7E940280
	v_mov_b32_e32 v106, 0                                      // 000000002D04: 7ED40280
	v_mov_b32_e32 v75, 0                                       // 000000002D08: 7E960280
	v_mov_b32_e32 v107, 0                                      // 000000002D0C: 7ED60280
	v_mov_b32_e32 v76, 0                                       // 000000002D10: 7E980280
	v_mov_b32_e32 v108, 0                                      // 000000002D14: 7ED80280
	v_mov_b32_e32 v77, 0                                       // 000000002D18: 7E9A0280
	v_mov_b32_e32 v109, 0                                      // 000000002D1C: 7EDA0280
	v_mov_b32_e32 v78, 0                                       // 000000002D20: 7E9C0280
	v_mov_b32_e32 v110, 0                                      // 000000002D24: 7EDC0280
	v_mov_b32_e32 v79, 0                                       // 000000002D28: 7E9E0280
	v_mov_b32_e32 v111, 0                                      // 000000002D2C: 7EDE0280
	v_mov_b32_e32 v80, 0                                       // 000000002D30: 7EA00280
	v_mov_b32_e32 v112, 0                                      // 000000002D34: 7EE00280
	v_mov_b32_e32 v81, 0                                       // 000000002D38: 7EA20280
	v_mov_b32_e32 v113, 0                                      // 000000002D3C: 7EE20280
	v_mov_b32_e32 v82, 0                                       // 000000002D40: 7EA40280
	v_mov_b32_e32 v114, 0                                      // 000000002D44: 7EE40280
	v_mov_b32_e32 v83, 0                                       // 000000002D48: 7EA60280
	v_mov_b32_e32 v115, 0                                      // 000000002D4C: 7EE60280
	v_mov_b32_e32 v84, 0                                       // 000000002D50: 7EA80280
	v_mov_b32_e32 v116, 0                                      // 000000002D54: 7EE80280
	v_mov_b32_e32 v85, 0                                       // 000000002D58: 7EAA0280
	v_mov_b32_e32 v117, 0                                      // 000000002D5C: 7EEA0280
	v_mov_b32_e32 v86, 0                                       // 000000002D60: 7EAC0280
	v_mov_b32_e32 v118, 0                                      // 000000002D64: 7EEC0280
	v_mov_b32_e32 v87, 0                                       // 000000002D68: 7EAE0280
	v_mov_b32_e32 v119, 0                                      // 000000002D6C: 7EEE0280
	s_mul_i32 s60, s2, 0x100                                   // 000000002D70: 923CFF02 00000100
	s_cmp_eq_u32 s88, 0                                        // 000000002D78: BF068058
	s_cselect_b32 s61, 1, 2                                    // 000000002D7C: 853D8281
	s_mul_i32 s60, s60, s61                                    // 000000002D80: 923C3D3C
	s_mov_b32 s90, s8                                          // 000000002D84: BEDA0008
	s_mov_b32 s91, s9                                          // 000000002D88: BEDB0009
	s_add_u32 s8, s60, s8                                      // 000000002D8C: 8008083C
	s_addc_u32 s9, 0, s9                                       // 000000002D90: 82090980
	v_lshrrev_b32_e32 v4, 4, v0                                // 000000002D94: 20080084
	v_mul_lo_u32 v20, 34, v4                                   // 000000002D98: D2850014 000208A2
	v_and_b32_e32 v4, 15, v0                                   // 000000002DA0: 2608008F
	v_mul_lo_u32 v5, 2, v4                                     // 000000002DA4: D2850005 00020882
	v_add_u32_e32 v20, v5, v20                                 // 000000002DAC: 68282905
	s_mul_i32 s60, s7, 0x88                                    // 000000002DB0: 923CFF07 00000088
	v_add_u32_e32 v20, s60, v20                                // 000000002DB8: 6828283C
	v_lshlrev_b32_e32 v20, 2, v20                              // 000000002DBC: 24282882
	v_and_b32_e32 v4, 31, v0                                   // 000000002DC0: 2608009F
	v_lshrrev_b32_e32 v4, 1, v4                                // 000000002DC4: 20080881
	v_mul_lo_u32 v21, 34, v4                                   // 000000002DC8: D2850015 000208A2
	v_lshrrev_b32_e32 v4, 5, v0                                // 000000002DD0: 20080085
	v_mul_lo_u32 v4, 8, v4                                     // 000000002DD4: D2850004 00020888
	v_add_u32_e32 v21, v21, v4                                 // 000000002DDC: 682A0915
	v_and_b32_e32 v5, 1, v0                                    // 000000002DE0: 260A0081
	v_add_u32_e32 v21, v5, v21                                 // 000000002DE4: 682A2B05
	s_mul_i32 s60, s7, 2                                       // 000000002DE8: 923C8207
	v_add_u32_e32 v21, s60, v21                                // 000000002DEC: 682A2A3C
	v_lshlrev_b32_e32 v21, 2, v21                              // 000000002DF0: 242A2A82
	s_mul_i32 s60, s7, 0x820                                   // 000000002DF4: 923CFF07 00000820
	s_add_u32 s48, 0, s60                                      // 000000002DFC: 80303C80
	s_add_u32 s49, 0x2080, s48                                 // 000000002E00: 803130FF 00002080
	s_add_u32 s50, 0x2080, s49                                 // 000000002E08: 803231FF 00002080
	v_lshrrev_b32_e32 v4, 4, v0                                // 000000002E10: 20080084
	v_lshlrev_b32_e32 v5, 2, v4                                // 000000002E14: 240A0882
	v_and_b32_e32 v4, 15, v0                                   // 000000002E18: 2608008F
	v_lshrrev_b32_e32 v6, 2, v4                                // 000000002E1C: 200C0882
	v_lshlrev_b32_e32 v6, 5, v6                                // 000000002E20: 240C0C85
	v_add_u32_e32 v5, v6, v5                                   // 000000002E24: 680A0B06
	v_and_b32_e32 v4, 3, v0                                    // 000000002E28: 26080083
	v_mul_u32_u24_e32 v6, 0x208, v4                            // 000000002E2C: 100C08FF 00000208
	v_add_u32_e32 v5, v6, v5                                   // 000000002E34: 680A0B06
	v_lshlrev_b32_e32 v2, 2, v5                                // 000000002E38: 24040A82
	s_waitcnt lgkmcnt(0)                                       // 000000002E3C: BF8CC07F
	s_mul_i32 s60, s2, 0x80                                    // 000000002E40: 923CFF02 00000080
	s_mul_i32 s60, s60, s69                                    // 000000002E48: 923C453C
	s_mul_i32 s61, s5, s72                                     // 000000002E4C: 923D4805
	s_add_u32 s60, s61, s60                                    // 000000002E50: 803C3C3D
	s_add_u32 s24, s60, s24                                    // 000000002E54: 8018183C
	s_addc_u32 s25, 0, s25                                     // 000000002E58: 82191980
	s_lshr_b32 s60, s64, s88                                   // 000000002E5C: 8F3C5840
	s_mul_i32 s60, s4, s60                                     // 000000002E60: 923C3C04
	s_lshr_b32 s60, s60, 7                                     // 000000002E64: 8F3C873C
	s_mul_i32 s60, s60, 0x800                                  // 000000002E68: 923CFF3C 00000800
	s_add_u32 s24, s60, s24                                    // 000000002E70: 8018183C
	s_addc_u32 s25, 0, s25                                     // 000000002E74: 82191980
	s_lshr_b32 s60, s69, s88                                   // 000000002E78: 8F3C5845
	s_mul_i32 s60, s4, s60                                     // 000000002E7C: 923C3C04
	s_add_u32 s20, s60, s20                                    // 000000002E80: 8014143C
	s_addc_u32 s21, 0, s21                                     // 000000002E84: 82151580
	s_mul_i32 s60, s7, 16                                      // 000000002E88: 923C9007
	s_mul_i32 s60, s60, s69                                    // 000000002E8C: 923C453C
	v_lshlrev_b32_e32 v54, 4, v0                               // 000000002E90: 246C0084
	v_add_u32_e32 v54, s60, v54                                // 000000002E94: 686C6C3C
	s_mul_i32 s60, 64, s69                                     // 000000002E98: 923C45C0
	v_add_u32_e32 v55, s60, v54                                // 000000002E9C: 686E6C3C
	s_mov_b32 s84, s24                                         // 000000002EA0: BED40018
	s_mov_b32 s85, s25                                         // 000000002EA4: BED50019
	s_mov_b32 s86, s26                                         // 000000002EA8: BED6001A
	s_mov_b32 s87, s27                                         // 000000002EAC: BED7001B
	s_mul_i32 s60, s69, s65                                    // 000000002EB0: 923C4145
	s_add_u32 s84, s60, s84                                    // 000000002EB4: 8054543C
	s_addc_u32 s85, 0, s85                                     // 000000002EB8: 82555580
	v_lshrrev_b32_e32 v4, 4, v0                                // 000000002EBC: 20080084
	v_lshlrev_b32_e32 v5, 2, v4                                // 000000002EC0: 240A0882
	v_and_b32_e32 v4, 15, v0                                   // 000000002EC4: 2608008F
	v_lshrrev_b32_e32 v6, 2, v4                                // 000000002EC8: 200C0882
	v_lshlrev_b32_e32 v6, 6, v6                                // 000000002ECC: 240C0C86
	v_add_u32_e32 v5, v6, v5                                   // 000000002ED0: 680A0B06
	v_and_b32_e32 v4, 3, v0                                    // 000000002ED4: 26080083
	v_add_u32_e32 v5, v4, v5                                   // 000000002ED8: 680A0B04
	v_lshlrev_b32_e32 v22, 2, v5                               // 000000002EDC: 242C0A82
	s_mul_i32 s60, s7, 16                                      // 000000002EE0: 923C9007
	s_mul_i32 s60, s60, 4                                      // 000000002EE4: 923C843C
	v_add_u32_e32 v22, s60, v22                                // 000000002EE8: 682C2C3C
	s_mul_i32 s60, s2, 0x80                                    // 000000002EEC: 923CFF02 00000080
	s_mul_i32 s60, s60, 4                                      // 000000002EF4: 923C843C
	s_mul_i32 s61, s5, s74                                     // 000000002EF8: 923D4A05
	s_add_u32 s61, s61, s60                                    // 000000002EFC: 803D3C3D
	s_add_u32 s32, s61, s32                                    // 000000002F00: 8020203D
	s_addc_u32 s33, 0, s33                                     // 000000002F04: 82212180
	s_mov_b32 s57, 0x80                                        // 000000002F08: BEB900FF 00000080
	s_mov_b32 s58, 0x800                                       // 000000002F10: BEBA00FF 00000800
	s_mov_b32 s83, s58                                         // 000000002F18: BED3003A
	s_mov_b32 s52, 0x7060302                                   // 000000002F1C: BEB400FF 07060302
	s_mov_b32 s53, 0x400                                       // 000000002F24: BEB500FF 00000400
	s_mov_b32 s54, 0x40100                                     // 000000002F2C: BEB600FF 00040100
	s_mov_b32 s55, 0x4020100                                   // 000000002F34: BEB700FF 04020100
	s_mov_b32 s6, 0x3fb8aa3b                                   // 000000002F3C: BE8600FF 3FB8AA3B
	s_mov_b32 s78, 0xbd92220c                                  // 000000002F44: BECE00FF BD92220C
	s_mov_b32 s79, 0xbd92220c                                  // 000000002F4C: BECF00FF BD92220C
	s_mov_b32 m0, s48                                          // 000000002F54: BEFC0030
	v_mov_b32_e32 v1, 0xbfcc4231                               // 000000002F58: 7E0202FF BFCC4231
	v_mov_b32_e32 v17, 0xffff0000                              // 000000002F60: 7E2202FF FFFF0000
	v_mov_b32_e32 v18, 0x7fff0000                              // 000000002F68: 7E2402FF 7FFF0000
	v_mov_b32_e32 v19, 0x7fff                                  // 000000002F70: 7E2602FF 00007FFF
	s_waitcnt vmcnt(0) expcnt(0) lgkmcnt(0)                    // 000000002F78: BF8C0000
	v_lshrrev_b32_e32 v4, 5, v0                                // 000000002F7C: 20080085
	v_xor_b32_e32 v5, 1, v4                                    // 000000002F80: 2A0A0881
	v_readlane_b32 s82, v3, 0                                  // 000000002F84: D2890052 00010103
	s_and_b32 s82, s82, 0xffffff                               // 000000002F8C: 8652FF52 00FFFFFF
	v_mul_lo_u32 v6, v5, s82                                   // 000000002F94: D2850006 0000A505
	v_readlane_b32 s82, v3, 1                                  // 000000002F9C: D2890052 00010303
	s_and_b32 s82, s82, 0xffffff                               // 000000002FA4: 8652FF52 00FFFFFF
	v_mul_lo_u32 v7, v4, s82                                   // 000000002FAC: D2850007 0000A504
	v_add_u32_e32 v46, v6, v7                                  // 000000002FB4: 685C0F06
	v_mul_lo_u32 v46, v46, s68                                 // 000000002FB8: D285002E 0000892E
	v_readlane_b32 s82, v3, 2                                  // 000000002FC0: D2890052 00010503
	s_and_b32 s82, s82, 0xffffff                               // 000000002FC8: 8652FF52 00FFFFFF
	v_mul_lo_u32 v6, v5, s82                                   // 000000002FD0: D2850006 0000A505
	v_readlane_b32 s82, v3, 3                                  // 000000002FD8: D2890052 00010703
	s_and_b32 s82, s82, 0xffffff                               // 000000002FE0: 8652FF52 00FFFFFF
	v_mul_lo_u32 v7, v4, s82                                   // 000000002FE8: D2850007 0000A504
	v_add_u32_e32 v47, v6, v7                                  // 000000002FF0: 685E0F06
	v_mul_lo_u32 v47, v47, s68                                 // 000000002FF4: D285002F 0000892F
	v_readlane_b32 s82, v3, 4                                  // 000000002FFC: D2890052 00010903
	s_and_b32 s82, s82, 0xffffff                               // 000000003004: 8652FF52 00FFFFFF
	v_mul_lo_u32 v6, v5, s82                                   // 00000000300C: D2850006 0000A505
	v_readlane_b32 s82, v3, 5                                  // 000000003014: D2890052 00010B03
	s_and_b32 s82, s82, 0xffffff                               // 00000000301C: 8652FF52 00FFFFFF
	v_mul_lo_u32 v7, v4, s82                                   // 000000003024: D2850007 0000A504
	v_add_u32_e32 v48, v6, v7                                  // 00000000302C: 68600F06
	v_mul_lo_u32 v48, v48, s68                                 // 000000003030: D2850030 00008930
	v_readlane_b32 s82, v3, 6                                  // 000000003038: D2890052 00010D03
	s_and_b32 s82, s82, 0xffffff                               // 000000003040: 8652FF52 00FFFFFF
	v_mul_lo_u32 v6, v5, s82                                   // 000000003048: D2850006 0000A505
	v_readlane_b32 s82, v3, 7                                  // 000000003050: D2890052 00010F03
	s_and_b32 s82, s82, 0xffffff                               // 000000003058: 8652FF52 00FFFFFF
	v_mul_lo_u32 v7, v4, s82                                   // 000000003060: D2850007 0000A504
	v_add_u32_e32 v49, v6, v7                                  // 000000003068: 68620F06
	v_mul_lo_u32 v49, v49, s68                                 // 00000000306C: D2850031 00008931
	v_readlane_b32 s82, v3, 8                                  // 000000003074: D2890052 00011103
	s_and_b32 s82, s82, 0xffffff                               // 00000000307C: 8652FF52 00FFFFFF
	v_mul_lo_u32 v6, v5, s82                                   // 000000003084: D2850006 0000A505
	v_readlane_b32 s82, v3, 9                                  // 00000000308C: D2890052 00011303
	s_and_b32 s82, s82, 0xffffff                               // 000000003094: 8652FF52 00FFFFFF
	v_mul_lo_u32 v7, v4, s82                                   // 00000000309C: D2850007 0000A504
	v_add_u32_e32 v50, v6, v7                                  // 0000000030A4: 68640F06
	v_mul_lo_u32 v50, v50, s68                                 // 0000000030A8: D2850032 00008932
	v_readlane_b32 s82, v3, 10                                 // 0000000030B0: D2890052 00011503
	s_and_b32 s82, s82, 0xffffff                               // 0000000030B8: 8652FF52 00FFFFFF
	v_mul_lo_u32 v6, v5, s82                                   // 0000000030C0: D2850006 0000A505
	v_readlane_b32 s82, v3, 11                                 // 0000000030C8: D2890052 00011703
	s_and_b32 s82, s82, 0xffffff                               // 0000000030D0: 8652FF52 00FFFFFF
	v_mul_lo_u32 v7, v4, s82                                   // 0000000030D8: D2850007 0000A504
	v_add_u32_e32 v51, v6, v7                                  // 0000000030E0: 68660F06
	v_mul_lo_u32 v51, v51, s68                                 // 0000000030E4: D2850033 00008933
	v_readlane_b32 s82, v3, 12                                 // 0000000030EC: D2890052 00011903
	s_and_b32 s82, s82, 0xffffff                               // 0000000030F4: 8652FF52 00FFFFFF
	v_mul_lo_u32 v6, v5, s82                                   // 0000000030FC: D2850006 0000A505
	v_readlane_b32 s82, v3, 13                                 // 000000003104: D2890052 00011B03
	s_and_b32 s82, s82, 0xffffff                               // 00000000310C: 8652FF52 00FFFFFF
	v_mul_lo_u32 v7, v4, s82                                   // 000000003114: D2850007 0000A504
	v_add_u32_e32 v52, v6, v7                                  // 00000000311C: 68680F06
	v_mul_lo_u32 v52, v52, s68                                 // 000000003120: D2850034 00008934
	v_readlane_b32 s82, v3, 14                                 // 000000003128: D2890052 00011D03
	s_and_b32 s82, s82, 0xffffff                               // 000000003130: 8652FF52 00FFFFFF
	v_mul_lo_u32 v6, v5, s82                                   // 000000003138: D2850006 0000A505
	v_readlane_b32 s82, v3, 15                                 // 000000003140: D2890052 00011F03
	s_and_b32 s82, s82, 0xffffff                               // 000000003148: 8652FF52 00FFFFFF
	v_mul_lo_u32 v7, v4, s82                                   // 000000003150: D2850007 0000A504
	v_add_u32_e32 v53, v6, v7                                  // 000000003158: 686A0F06
	v_mul_lo_u32 v53, v53, s68                                 // 00000000315C: D2850035 00008935
	v_and_b32_e32 v4, 31, v0                                   // 000000003164: 2608009F
	v_lshlrev_b32_e32 v4, 2, v4                                // 000000003168: 24080882
	v_add_u32_e32 v46, v46, v4                                 // 00000000316C: 685C092E
	v_add_u32_e32 v47, v47, v4                                 // 000000003170: 685E092F
	v_add_u32_e32 v48, v48, v4                                 // 000000003174: 68600930
	v_add_u32_e32 v49, v49, v4                                 // 000000003178: 68620931
	v_add_u32_e32 v50, v50, v4                                 // 00000000317C: 68640932
	v_add_u32_e32 v51, v51, v4                                 // 000000003180: 68660933
	v_add_u32_e32 v52, v52, v4                                 // 000000003184: 68680934
	v_add_u32_e32 v53, v53, v4                                 // 000000003188: 686A0935
	v_and_b32_e32 v30, 0xffffff, v30                           // 00000000318C: 263C3CFF 00FFFFFF
	v_lshlrev_b32_e32 v30, 2, v30                              // 000000003194: 243C3C82
	v_and_b32_e32 v31, 0xffffff, v31                           // 000000003198: 263E3EFF 00FFFFFF
	v_lshlrev_b32_e32 v31, 2, v31                              // 0000000031A0: 243E3E82
	v_and_b32_e32 v32, 0xffffff, v32                           // 0000000031A4: 264040FF 00FFFFFF
	v_lshlrev_b32_e32 v32, 2, v32                              // 0000000031AC: 24404082
	v_and_b32_e32 v33, 0xffffff, v33                           // 0000000031B0: 264242FF 00FFFFFF
	v_lshlrev_b32_e32 v33, 2, v33                              // 0000000031B8: 24424282
	s_lshl_b32 s3, s66, 2                                      // 0000000031BC: 8E038242
	buffer_load_dword v34, v30, s[28:31], 0 offen              // 0000000031C0: E0501000 8007221E
	buffer_load_dword v35, v31, s[28:31], 0 offen              // 0000000031C8: E0501000 8007231F
	buffer_load_dword v36, v32, s[28:31], 0 offen              // 0000000031D0: E0501000 80072420
	buffer_load_dword v37, v33, s[28:31], 0 offen              // 0000000031D8: E0501000 80072521
	buffer_load_dword v24, v22, s[32:35], 0 offen              // 0000000031E0: E0501000 80081816
	s_mul_i32 s60, 4, s65                                      // 0000000031E8: 923C4184
	s_add_u32 s32, s60, s32                                    // 0000000031EC: 8020203C
	s_addc_u32 s33, 0, s33                                     // 0000000031F0: 82212180
	buffer_load_dword v27, v22, s[32:35], 0 offen              // 0000000031F4: E0501000 80081B16
	buffer_load_dword v46, s[20:23], 0 offen lds               // 0000000031FC: E0511000 8005002E
	s_add_u32 m0, 0x100, s48                                   // 000000003204: 807C30FF 00000100
	buffer_load_dword v47, s[20:23], 0 offen lds               // 00000000320C: E0511000 8005002F
	s_add_u32 m0, 0x200, s48                                   // 000000003214: 807C30FF 00000200
	buffer_load_dword v48, s[20:23], 0 offen lds               // 00000000321C: E0511000 80050030
	s_add_u32 m0, 0x300, s48                                   // 000000003224: 807C30FF 00000300
	buffer_load_dword v49, s[20:23], 0 offen lds               // 00000000322C: E0511000 80050031
	s_add_u32 m0, 0x400, s48                                   // 000000003234: 807C30FF 00000400
	buffer_load_dword v50, s[20:23], 0 offen lds               // 00000000323C: E0511000 80050032
	s_add_u32 m0, 0x500, s48                                   // 000000003244: 807C30FF 00000500
	buffer_load_dword v51, s[20:23], 0 offen lds               // 00000000324C: E0511000 80050033
	s_add_u32 m0, 0x600, s48                                   // 000000003254: 807C30FF 00000600
	buffer_load_dword v52, s[20:23], 0 offen lds               // 00000000325C: E0511000 80050034
	s_add_u32 m0, 0x700, s48                                   // 000000003264: 807C30FF 00000700
	buffer_load_dword v53, s[20:23], 0 offen lds               // 00000000326C: E0511000 80050035
	s_add_u32 m0, 0, s49                                       // 000000003274: 807C3180
	s_add_u32 s20, s57, s20                                    // 000000003278: 80141439
	s_addc_u32 s21, 0, s21                                     // 00000000327C: 82151580
	buffer_load_dwordx4 a[64:67], v54, s[24:27], 0 offen       // 000000003280: E05C1000 80864036
	buffer_load_dwordx4 a[68:71], v54, s[24:27], 0 offen offset:1024// 000000003288: E05C1400 80864436
	buffer_load_dwordx4 a[72:75], v55, s[24:27], 0 offen       // 000000003290: E05C1000 80864837
	buffer_load_dwordx4 a[76:79], v55, s[24:27], 0 offen offset:1024// 000000003298: E05C1400 80864C37
	s_add_u32 s24, s58, s24                                    // 0000000032A0: 8018183A
	s_addc_u32 s25, 0, s25                                     // 0000000032A4: 82191980
	buffer_load_dword v46, s[20:23], 0 offen lds               // 0000000032A8: E0511000 8005002E
	s_add_u32 m0, 0x100, s49                                   // 0000000032B0: 807C31FF 00000100
	buffer_load_dword v47, s[20:23], 0 offen lds               // 0000000032B8: E0511000 8005002F
	s_add_u32 m0, 0x200, s49                                   // 0000000032C0: 807C31FF 00000200
	buffer_load_dword v48, s[20:23], 0 offen lds               // 0000000032C8: E0511000 80050030
	s_add_u32 m0, 0x300, s49                                   // 0000000032D0: 807C31FF 00000300
	buffer_load_dword v49, s[20:23], 0 offen lds               // 0000000032D8: E0511000 80050031
	s_add_u32 m0, 0x400, s49                                   // 0000000032E0: 807C31FF 00000400
	buffer_load_dword v50, s[20:23], 0 offen lds               // 0000000032E8: E0511000 80050032
	s_add_u32 m0, 0x500, s49                                   // 0000000032F0: 807C31FF 00000500
	buffer_load_dword v51, s[20:23], 0 offen lds               // 0000000032F8: E0511000 80050033
	s_add_u32 m0, 0x600, s49                                   // 000000003300: 807C31FF 00000600
	buffer_load_dword v52, s[20:23], 0 offen lds               // 000000003308: E0511000 80050034
	s_add_u32 m0, 0x700, s49                                   // 000000003310: 807C31FF 00000700
	buffer_load_dword v53, s[20:23], 0 offen lds               // 000000003318: E0511000 80050035
	s_add_u32 m0, 0, s50                                       // 000000003320: 807C3280
	s_add_u32 s20, s57, s20                                    // 000000003324: 80141439
	s_addc_u32 s21, 0, s21                                     // 000000003328: 82151580
	buffer_load_dwordx4 a[80:83], v54, s[84:87], 0 offen       // 00000000332C: E05C1000 80955036
	buffer_load_dwordx4 a[84:87], v54, s[84:87], 0 offen offset:1024// 000000003334: E05C1400 80955436
	buffer_load_dwordx4 a[88:91], v55, s[84:87], 0 offen       // 00000000333C: E05C1000 80955837
	buffer_load_dwordx4 a[92:95], v55, s[84:87], 0 offen offset:1024// 000000003344: E05C1400 80955C37
	s_add_u32 s84, s83, s84                                    // 00000000334C: 80545453
	s_addc_u32 s85, 0, s85                                     // 000000003350: 82555580
	s_waitcnt vmcnt(16)                                        // 000000003354: BF8C4F70
	s_barrier                                                  // 000000003358: BF8A0000
	ds_read_b128 a[0:3], v2                                    // 00000000335C: DBFE0000 00000002
	ds_read_b128 a[4:7], v2 offset:64                          // 000000003364: DBFE0040 04000002
	ds_read_b128 a[8:11], v2 offset:512                        // 00000000336C: DBFE0200 08000002
	ds_read_b128 a[12:15], v2 offset:576                       // 000000003374: DBFE0240 0C000002
	ds_read_b128 a[16:19], v2 offset:1024                      // 00000000337C: DBFE0400 10000002
	ds_read_b128 a[20:23], v2 offset:1088                      // 000000003384: DBFE0440 14000002
	ds_read_b128 a[24:27], v2 offset:1536                      // 00000000338C: DBFE0600 18000002
	ds_read_b128 a[28:31], v2 offset:1600                      // 000000003394: DBFE0640 1C000002
	s_cmp_lt_i32 s7, 2                                         // 00000000339C: BF048207
	s_cbranch_scc0 label_115C                                  // 0000000033A0: BF840EF0

00000000000033a4 <label_0269>:
	s_waitcnt vmcnt(12) lgkmcnt(0)                             // 0000000033A4: BF8C007C
	v_mfma_i32_16x16x32_i8 v[56:59], a[64:65], a[0:1], v[56:59]// 0000000033A8: D3D70038 1CE20140
	v_mfma_i32_16x16x32_i8 v[56:59], a[66:67], a[2:3], v[56:59]// 0000000033B0: D3D70038 1CE20542
	buffer_load_dwordx4 a[96:99], v54, s[24:27], 0 offen       // 0000000033B8: E05C1000 80866036
	v_mfma_i32_16x16x32_i8 v[56:59], a[68:69], a[4:5], v[56:59]// 0000000033C0: D3D70038 1CE20944
	v_mfma_i32_16x16x32_i8 v[56:59], a[70:71], a[6:7], v[56:59]// 0000000033C8: D3D70038 1CE20D46
	v_mfma_i32_16x16x32_i8 v[72:75], a[72:73], a[0:1], v[72:75]// 0000000033D0: D3D70048 1D220148
	v_mfma_i32_16x16x32_i8 v[72:75], a[74:75], a[2:3], v[72:75]// 0000000033D8: D3D70048 1D22054A
	buffer_load_dwordx4 a[100:103], v54, s[24:27], 0 offen offset:1024// 0000000033E0: E05C1400 80866436
	v_mfma_i32_16x16x32_i8 v[72:75], a[76:77], a[4:5], v[72:75]// 0000000033E8: D3D70048 1D22094C
	v_mfma_i32_16x16x32_i8 v[72:75], a[78:79], a[6:7], v[72:75]// 0000000033F0: D3D70048 1D220D4E
	v_mfma_i32_16x16x32_i8 v[60:63], a[64:65], a[8:9], v[60:63]// 0000000033F8: D3D7003C 1CF21140
	v_mfma_i32_16x16x32_i8 v[60:63], a[66:67], a[10:11], v[60:63]// 000000003400: D3D7003C 1CF21542
	buffer_load_dwordx4 a[104:107], v55, s[24:27], 0 offen     // 000000003408: E05C1000 80866837
	v_mfma_i32_16x16x32_i8 v[60:63], a[68:69], a[12:13], v[60:63]// 000000003410: D3D7003C 1CF21944
	v_mfma_i32_16x16x32_i8 v[60:63], a[70:71], a[14:15], v[60:63]// 000000003418: D3D7003C 1CF21D46
	v_mfma_i32_16x16x32_i8 v[76:79], a[72:73], a[8:9], v[76:79]// 000000003420: D3D7004C 1D321148
	v_mfma_i32_16x16x32_i8 v[76:79], a[74:75], a[10:11], v[76:79]// 000000003428: D3D7004C 1D32154A
	buffer_load_dwordx4 a[108:111], v55, s[24:27], 0 offen offset:1024// 000000003430: E05C1400 80866C37
	buffer_load_dword v46, s[20:23], 0 offen lds               // 000000003438: E0511000 8005002E
	s_add_u32 m0, 0x100, s50                                   // 000000003440: 807C32FF 00000100
	v_mfma_i32_16x16x32_i8 v[76:79], a[76:77], a[12:13], v[76:79]// 000000003448: D3D7004C 1D32194C
	v_mfma_i32_16x16x32_i8 v[76:79], a[78:79], a[14:15], v[76:79]// 000000003450: D3D7004C 1D321D4E
	buffer_load_dword v47, s[20:23], 0 offen lds               // 000000003458: E0511000 8005002F
	s_add_u32 m0, 0x200, s50                                   // 000000003460: 807C32FF 00000200
	v_mfma_i32_16x16x32_i8 v[64:67], a[64:65], a[16:17], v[64:67]// 000000003468: D3D70040 1D022140
	v_mfma_i32_16x16x32_i8 v[64:67], a[66:67], a[18:19], v[64:67]// 000000003470: D3D70040 1D022542
	buffer_load_dword v48, s[20:23], 0 offen lds               // 000000003478: E0511000 80050030
	s_add_u32 m0, 0x300, s50                                   // 000000003480: 807C32FF 00000300
	v_mfma_i32_16x16x32_i8 v[64:67], a[68:69], a[20:21], v[64:67]// 000000003488: D3D70040 1D022944
	v_mfma_i32_16x16x32_i8 v[64:67], a[70:71], a[22:23], v[64:67]// 000000003490: D3D70040 1D022D46
	buffer_load_dword v49, s[20:23], 0 offen lds               // 000000003498: E0511000 80050031
	s_add_u32 m0, 0x400, s50                                   // 0000000034A0: 807C32FF 00000400
	v_mfma_i32_16x16x32_i8 v[80:83], a[72:73], a[16:17], v[80:83]// 0000000034A8: D3D70050 1D422148
	v_mfma_i32_16x16x32_i8 v[80:83], a[74:75], a[18:19], v[80:83]// 0000000034B0: D3D70050 1D42254A
	buffer_load_dword v50, s[20:23], 0 offen lds               // 0000000034B8: E0511000 80050032
	s_add_u32 m0, 0x500, s50                                   // 0000000034C0: 807C32FF 00000500
	v_mfma_i32_16x16x32_i8 v[80:83], a[76:77], a[20:21], v[80:83]// 0000000034C8: D3D70050 1D42294C
	v_mfma_i32_16x16x32_i8 v[80:83], a[78:79], a[22:23], v[80:83]// 0000000034D0: D3D70050 1D422D4E
	buffer_load_dword v51, s[20:23], 0 offen lds               // 0000000034D8: E0511000 80050033
	s_add_u32 m0, 0x600, s50                                   // 0000000034E0: 807C32FF 00000600
	v_mfma_i32_16x16x32_i8 v[68:71], a[64:65], a[24:25], v[68:71]// 0000000034E8: D3D70044 1D123140
	v_mfma_i32_16x16x32_i8 v[68:71], a[66:67], a[26:27], v[68:71]// 0000000034F0: D3D70044 1D123542
	buffer_load_dword v52, s[20:23], 0 offen lds               // 0000000034F8: E0511000 80050034
	s_add_u32 m0, 0x700, s50                                   // 000000003500: 807C32FF 00000700
	v_mfma_i32_16x16x32_i8 v[68:71], a[68:69], a[28:29], v[68:71]// 000000003508: D3D70044 1D123944
	v_mfma_i32_16x16x32_i8 v[68:71], a[70:71], a[30:31], v[68:71]// 000000003510: D3D70044 1D123D46
	buffer_load_dword v53, s[20:23], 0 offen lds               // 000000003518: E0511000 80050035
	s_add_u32 m0, 0, s48                                       // 000000003520: 807C3080
	v_mfma_i32_16x16x32_i8 v[84:87], a[72:73], a[24:25], v[84:87]// 000000003524: D3D70054 1D523148
	v_mfma_i32_16x16x32_i8 v[84:87], a[74:75], a[26:27], v[84:87]// 00000000352C: D3D70054 1D52354A
	v_mfma_i32_16x16x32_i8 v[84:87], a[76:77], a[28:29], v[84:87]// 000000003534: D3D70054 1D52394C
	v_mfma_i32_16x16x32_i8 v[84:87], a[78:79], a[30:31], v[84:87]// 00000000353C: D3D70054 1D523D4E
	s_waitcnt vmcnt(12)                                        // 000000003544: BF8C0F7C
	s_barrier                                                  // 000000003548: BF8A0000
	v_mfma_i32_16x16x32_i8 v[88:91], a[80:81], a[0:1], v[88:91]// 00000000354C: D3D70058 1D620150
	v_mfma_i32_16x16x32_i8 v[88:91], a[82:83], a[2:3], v[88:91]// 000000003554: D3D70058 1D620552
	buffer_load_dwordx4 a[64:67], v54, s[84:87], 0 offen       // 00000000355C: E05C1000 80954036
	v_mfma_i32_16x16x32_i8 v[88:91], a[84:85], a[4:5], v[88:91]// 000000003564: D3D70058 1D620954
	v_mfma_i32_16x16x32_i8 v[88:91], a[86:87], a[6:7], v[88:91]// 00000000356C: D3D70058 1D620D56
	ds_read_b128 a[32:35], v2 offset:8320                      // 000000003574: DBFE2080 20000002
	ds_read_b128 a[36:39], v2 offset:8384                      // 00000000357C: DBFE20C0 24000002
	v_mfma_i32_16x16x32_i8 v[104:107], a[88:89], a[0:1], v[104:107]// 000000003584: D3D70068 1DA20158
	v_mfma_i32_16x16x32_i8 v[104:107], a[90:91], a[2:3], v[104:107]// 00000000358C: D3D70068 1DA2055A
	buffer_load_dwordx4 a[68:71], v54, s[84:87], 0 offen offset:1024// 000000003594: E05C1400 80954436
	v_mfma_i32_16x16x32_i8 v[104:107], a[92:93], a[4:5], v[104:107]// 00000000359C: D3D70068 1DA2095C
	v_mfma_i32_16x16x32_i8 v[104:107], a[94:95], a[6:7], v[104:107]// 0000000035A4: D3D70068 1DA20D5E
	ds_read_b128 a[40:43], v2 offset:8832                      // 0000000035AC: DBFE2280 28000002
	ds_read_b128 a[44:47], v2 offset:8896                      // 0000000035B4: DBFE22C0 2C000002
	v_mfma_i32_16x16x32_i8 v[92:95], a[80:81], a[8:9], v[92:95]// 0000000035BC: D3D7005C 1D721150
	v_mfma_i32_16x16x32_i8 v[92:95], a[82:83], a[10:11], v[92:95]// 0000000035C4: D3D7005C 1D721552
	buffer_load_dwordx4 a[72:75], v55, s[84:87], 0 offen       // 0000000035CC: E05C1000 80954837
	v_mfma_i32_16x16x32_i8 v[92:95], a[84:85], a[12:13], v[92:95]// 0000000035D4: D3D7005C 1D721954
	v_mfma_i32_16x16x32_i8 v[92:95], a[86:87], a[14:15], v[92:95]// 0000000035DC: D3D7005C 1D721D56
	ds_read_b128 a[48:51], v2 offset:9344                      // 0000000035E4: DBFE2480 30000002
	ds_read_b128 a[52:55], v2 offset:9408                      // 0000000035EC: DBFE24C0 34000002
	v_mfma_i32_16x16x32_i8 v[108:111], a[88:89], a[8:9], v[108:111]// 0000000035F4: D3D7006C 1DB21158
	v_mfma_i32_16x16x32_i8 v[108:111], a[90:91], a[10:11], v[108:111]// 0000000035FC: D3D7006C 1DB2155A
	buffer_load_dwordx4 a[76:79], v55, s[84:87], 0 offen offset:1024// 000000003604: E05C1400 80954C37
	v_mfma_i32_16x16x32_i8 v[108:111], a[92:93], a[12:13], v[108:111]// 00000000360C: D3D7006C 1DB2195C
	v_mfma_i32_16x16x32_i8 v[108:111], a[94:95], a[14:15], v[108:111]// 000000003614: D3D7006C 1DB21D5E
	ds_read_b128 a[56:59], v2 offset:9856                      // 00000000361C: DBFE2680 38000002
	ds_read_b128 a[60:63], v2 offset:9920                      // 000000003624: DBFE26C0 3C000002
	v_mfma_i32_16x16x32_i8 v[96:99], a[80:81], a[16:17], v[96:99]// 00000000362C: D3D70060 1D822150
	v_mfma_i32_16x16x32_i8 v[96:99], a[82:83], a[18:19], v[96:99]// 000000003634: D3D70060 1D822552
	v_mfma_i32_16x16x32_i8 v[96:99], a[84:85], a[20:21], v[96:99]// 00000000363C: D3D70060 1D822954
	v_mfma_i32_16x16x32_i8 v[96:99], a[86:87], a[22:23], v[96:99]// 000000003644: D3D70060 1D822D56
	v_mfma_i32_16x16x32_i8 v[112:115], a[88:89], a[16:17], v[112:115]// 00000000364C: D3D70070 1DC22158
	v_mfma_i32_16x16x32_i8 v[112:115], a[90:91], a[18:19], v[112:115]// 000000003654: D3D70070 1DC2255A
	v_mfma_i32_16x16x32_i8 v[112:115], a[92:93], a[20:21], v[112:115]// 00000000365C: D3D70070 1DC2295C
	v_mfma_i32_16x16x32_i8 v[112:115], a[94:95], a[22:23], v[112:115]// 000000003664: D3D70070 1DC22D5E
	v_mfma_i32_16x16x32_i8 v[100:103], a[80:81], a[24:25], v[100:103]// 00000000366C: D3D70064 1D923150
	s_add_u32 s60, 0x180, s80                                  // 000000003674: 803C50FF 00000180
	s_cmp_lt_u32 s60, s81                                      // 00000000367C: BF0A513C
	s_cselect_b32 s57, s57, 0                                  // 000000003680: 85398039
	v_mfma_i32_16x16x32_i8 v[100:103], a[82:83], a[26:27], v[100:103]// 000000003684: D3D70064 1D923552
	s_add_u32 s60, 0x100, s80                                  // 00000000368C: 803C50FF 00000100
	s_cmp_lt_u32 s60, s81                                      // 000000003694: BF0A513C
	s_cselect_b32 s58, s58, 0                                  // 000000003698: 853A803A
	v_mfma_i32_16x16x32_i8 v[100:103], a[84:85], a[28:29], v[100:103]// 00000000369C: D3D70064 1D923954
	s_add_u32 s60, 0x100, s80                                  // 0000000036A4: 803C50FF 00000100
	s_cmp_lt_u32 s60, s81                                      // 0000000036AC: BF0A513C
	s_cselect_b32 s83, s83, 0                                  // 0000000036B0: 85538053
	v_mfma_i32_16x16x32_i8 v[100:103], a[86:87], a[30:31], v[100:103]// 0000000036B4: D3D70064 1D923D56
	s_add_u32 s24, s58, s24                                    // 0000000036BC: 8018183A
	s_addc_u32 s25, 0, s25                                     // 0000000036C0: 82191980
	v_mfma_i32_16x16x32_i8 v[116:119], a[88:89], a[24:25], v[116:119]// 0000000036C4: D3D70074 1DD23158
	s_add_u32 s20, s57, s20                                    // 0000000036CC: 80141439
	s_addc_u32 s21, 0, s21                                     // 0000000036D0: 82151580
	v_mfma_i32_16x16x32_i8 v[116:119], a[90:91], a[26:27], v[116:119]// 0000000036D4: D3D70074 1DD2355A
	s_add_u32 s84, s83, s84                                    // 0000000036DC: 80545453
	s_addc_u32 s85, 0, s85                                     // 0000000036E0: 82555580
	v_mfma_i32_16x16x32_i8 v[116:119], a[92:93], a[28:29], v[116:119]// 0000000036E4: D3D70074 1DD2395C
	v_mfma_i32_16x16x32_i8 v[116:119], a[94:95], a[30:31], v[116:119]// 0000000036EC: D3D70074 1DD23D5E
	s_addk_i32 s80, 0x80                                       // 0000000036F4: B7500080
	s_cmp_lt_i32 s80, s81                                      // 0000000036F8: BF045150
	s_cbranch_scc0 label_0774                                  // 0000000036FC: BF840434
	s_waitcnt vmcnt(12) lgkmcnt(0)                             // 000000003700: BF8C007C
	v_mfma_i32_16x16x32_i8 v[56:59], a[96:97], a[32:33], v[56:59]// 000000003704: D3D70038 1CE24160
	v_mfma_i32_16x16x32_i8 v[56:59], a[98:99], a[34:35], v[56:59]// 00000000370C: D3D70038 1CE24562
	buffer_load_dwordx4 a[80:83], v54, s[24:27], 0 offen       // 000000003714: E05C1000 80865036
	v_mfma_i32_16x16x32_i8 v[56:59], a[100:101], a[36:37], v[56:59]// 00000000371C: D3D70038 1CE24964
	v_mfma_i32_16x16x32_i8 v[56:59], a[102:103], a[38:39], v[56:59]// 000000003724: D3D70038 1CE24D66
	v_mfma_i32_16x16x32_i8 v[72:75], a[104:105], a[32:33], v[72:75]// 00000000372C: D3D70048 1D224168
	v_mfma_i32_16x16x32_i8 v[72:75], a[106:107], a[34:35], v[72:75]// 000000003734: D3D70048 1D22456A
	buffer_load_dwordx4 a[84:87], v54, s[24:27], 0 offen offset:1024// 00000000373C: E05C1400 80865436
	v_mfma_i32_16x16x32_i8 v[72:75], a[108:109], a[36:37], v[72:75]// 000000003744: D3D70048 1D22496C
	v_mfma_i32_16x16x32_i8 v[72:75], a[110:111], a[38:39], v[72:75]// 00000000374C: D3D70048 1D224D6E
	v_mfma_i32_16x16x32_i8 v[60:63], a[96:97], a[40:41], v[60:63]// 000000003754: D3D7003C 1CF25160
	v_mfma_i32_16x16x32_i8 v[60:63], a[98:99], a[42:43], v[60:63]// 00000000375C: D3D7003C 1CF25562
	buffer_load_dwordx4 a[88:91], v55, s[24:27], 0 offen       // 000000003764: E05C1000 80865837
	v_mfma_i32_16x16x32_i8 v[60:63], a[100:101], a[44:45], v[60:63]// 00000000376C: D3D7003C 1CF25964
	v_mfma_i32_16x16x32_i8 v[60:63], a[102:103], a[46:47], v[60:63]// 000000003774: D3D7003C 1CF25D66
	v_mfma_i32_16x16x32_i8 v[76:79], a[104:105], a[40:41], v[76:79]// 00000000377C: D3D7004C 1D325168
	v_mfma_i32_16x16x32_i8 v[76:79], a[106:107], a[42:43], v[76:79]// 000000003784: D3D7004C 1D32556A
	buffer_load_dwordx4 a[92:95], v55, s[24:27], 0 offen offset:1024// 00000000378C: E05C1400 80865C37
	buffer_load_dword v46, s[20:23], 0 offen lds               // 000000003794: E0511000 8005002E
	s_add_u32 m0, 0x100, s48                                   // 00000000379C: 807C30FF 00000100
	v_mfma_i32_16x16x32_i8 v[76:79], a[108:109], a[44:45], v[76:79]// 0000000037A4: D3D7004C 1D32596C
	v_mfma_i32_16x16x32_i8 v[76:79], a[110:111], a[46:47], v[76:79]// 0000000037AC: D3D7004C 1D325D6E
	buffer_load_dword v47, s[20:23], 0 offen lds               // 0000000037B4: E0511000 8005002F
	s_add_u32 m0, 0x200, s48                                   // 0000000037BC: 807C30FF 00000200
	v_mfma_i32_16x16x32_i8 v[64:67], a[96:97], a[48:49], v[64:67]// 0000000037C4: D3D70040 1D026160
	v_mfma_i32_16x16x32_i8 v[64:67], a[98:99], a[50:51], v[64:67]// 0000000037CC: D3D70040 1D026562
	buffer_load_dword v48, s[20:23], 0 offen lds               // 0000000037D4: E0511000 80050030
	s_add_u32 m0, 0x300, s48                                   // 0000000037DC: 807C30FF 00000300
	v_mfma_i32_16x16x32_i8 v[64:67], a[100:101], a[52:53], v[64:67]// 0000000037E4: D3D70040 1D026964
	v_mfma_i32_16x16x32_i8 v[64:67], a[102:103], a[54:55], v[64:67]// 0000000037EC: D3D70040 1D026D66
	buffer_load_dword v49, s[20:23], 0 offen lds               // 0000000037F4: E0511000 80050031
	s_add_u32 m0, 0x400, s48                                   // 0000000037FC: 807C30FF 00000400
	v_mfma_i32_16x16x32_i8 v[80:83], a[104:105], a[48:49], v[80:83]// 000000003804: D3D70050 1D426168
	v_mfma_i32_16x16x32_i8 v[80:83], a[106:107], a[50:51], v[80:83]// 00000000380C: D3D70050 1D42656A
	buffer_load_dword v50, s[20:23], 0 offen lds               // 000000003814: E0511000 80050032
	s_add_u32 m0, 0x500, s48                                   // 00000000381C: 807C30FF 00000500
	v_mfma_i32_16x16x32_i8 v[80:83], a[108:109], a[52:53], v[80:83]// 000000003824: D3D70050 1D42696C
	v_mfma_i32_16x16x32_i8 v[80:83], a[110:111], a[54:55], v[80:83]// 00000000382C: D3D70050 1D426D6E
	buffer_load_dword v51, s[20:23], 0 offen lds               // 000000003834: E0511000 80050033
	s_add_u32 m0, 0x600, s48                                   // 00000000383C: 807C30FF 00000600
	v_mfma_i32_16x16x32_i8 v[68:71], a[96:97], a[56:57], v[68:71]// 000000003844: D3D70044 1D127160
	v_mfma_i32_16x16x32_i8 v[68:71], a[98:99], a[58:59], v[68:71]// 00000000384C: D3D70044 1D127562
	buffer_load_dword v52, s[20:23], 0 offen lds               // 000000003854: E0511000 80050034
	s_add_u32 m0, 0x700, s48                                   // 00000000385C: 807C30FF 00000700
	v_mfma_i32_16x16x32_i8 v[68:71], a[100:101], a[60:61], v[68:71]// 000000003864: D3D70044 1D127964
	v_mfma_i32_16x16x32_i8 v[68:71], a[102:103], a[62:63], v[68:71]// 00000000386C: D3D70044 1D127D66
	buffer_load_dword v53, s[20:23], 0 offen lds               // 000000003874: E0511000 80050035
	s_add_u32 m0, 0, s49                                       // 00000000387C: 807C3180
	v_mfma_i32_16x16x32_i8 v[84:87], a[104:105], a[56:57], v[84:87]// 000000003880: D3D70054 1D527168
	v_mfma_i32_16x16x32_i8 v[84:87], a[106:107], a[58:59], v[84:87]// 000000003888: D3D70054 1D52756A
	v_mfma_i32_16x16x32_i8 v[84:87], a[108:109], a[60:61], v[84:87]// 000000003890: D3D70054 1D52796C
	v_mfma_i32_16x16x32_i8 v[84:87], a[110:111], a[62:63], v[84:87]// 000000003898: D3D70054 1D527D6E
	s_waitcnt vmcnt(12)                                        // 0000000038A0: BF8C0F7C
	s_barrier                                                  // 0000000038A4: BF8A0000
	v_mfma_i32_16x16x32_i8 v[88:91], a[64:65], a[32:33], v[88:91]// 0000000038A8: D3D70058 1D624140
	v_mfma_i32_16x16x32_i8 v[88:91], a[66:67], a[34:35], v[88:91]// 0000000038B0: D3D70058 1D624542
	buffer_load_dwordx4 a[96:99], v54, s[84:87], 0 offen       // 0000000038B8: E05C1000 80956036
	v_mfma_i32_16x16x32_i8 v[88:91], a[68:69], a[36:37], v[88:91]// 0000000038C0: D3D70058 1D624944
	v_mfma_i32_16x16x32_i8 v[88:91], a[70:71], a[38:39], v[88:91]// 0000000038C8: D3D70058 1D624D46
	ds_read_b128 a[0:3], v2 offset:16640                       // 0000000038D0: DBFE4100 00000002
	ds_read_b128 a[4:7], v2 offset:16704                       // 0000000038D8: DBFE4140 04000002
	v_mfma_i32_16x16x32_i8 v[104:107], a[72:73], a[32:33], v[104:107]// 0000000038E0: D3D70068 1DA24148
	v_mfma_i32_16x16x32_i8 v[104:107], a[74:75], a[34:35], v[104:107]// 0000000038E8: D3D70068 1DA2454A
	buffer_load_dwordx4 a[100:103], v54, s[84:87], 0 offen offset:1024// 0000000038F0: E05C1400 80956436
	v_mfma_i32_16x16x32_i8 v[104:107], a[76:77], a[36:37], v[104:107]// 0000000038F8: D3D70068 1DA2494C
	v_mfma_i32_16x16x32_i8 v[104:107], a[78:79], a[38:39], v[104:107]// 000000003900: D3D70068 1DA24D4E
	ds_read_b128 a[8:11], v2 offset:17152                      // 000000003908: DBFE4300 08000002
	ds_read_b128 a[12:15], v2 offset:17216                     // 000000003910: DBFE4340 0C000002
	v_mfma_i32_16x16x32_i8 v[92:95], a[64:65], a[40:41], v[92:95]// 000000003918: D3D7005C 1D725140
	v_mfma_i32_16x16x32_i8 v[92:95], a[66:67], a[42:43], v[92:95]// 000000003920: D3D7005C 1D725542
	buffer_load_dwordx4 a[104:107], v55, s[84:87], 0 offen     // 000000003928: E05C1000 80956837
	v_mfma_i32_16x16x32_i8 v[92:95], a[68:69], a[44:45], v[92:95]// 000000003930: D3D7005C 1D725944
	v_mfma_i32_16x16x32_i8 v[92:95], a[70:71], a[46:47], v[92:95]// 000000003938: D3D7005C 1D725D46
	ds_read_b128 a[16:19], v2 offset:17664                     // 000000003940: DBFE4500 10000002
	ds_read_b128 a[20:23], v2 offset:17728                     // 000000003948: DBFE4540 14000002
	v_mfma_i32_16x16x32_i8 v[108:111], a[72:73], a[40:41], v[108:111]// 000000003950: D3D7006C 1DB25148
	v_mfma_i32_16x16x32_i8 v[108:111], a[74:75], a[42:43], v[108:111]// 000000003958: D3D7006C 1DB2554A
	buffer_load_dwordx4 a[108:111], v55, s[84:87], 0 offen offset:1024// 000000003960: E05C1400 80956C37
	v_mfma_i32_16x16x32_i8 v[108:111], a[76:77], a[44:45], v[108:111]// 000000003968: D3D7006C 1DB2594C
	v_mfma_i32_16x16x32_i8 v[108:111], a[78:79], a[46:47], v[108:111]// 000000003970: D3D7006C 1DB25D4E
	ds_read_b128 a[24:27], v2 offset:18176                     // 000000003978: DBFE4700 18000002
	ds_read_b128 a[28:31], v2 offset:18240                     // 000000003980: DBFE4740 1C000002
	v_mfma_i32_16x16x32_i8 v[96:99], a[64:65], a[48:49], v[96:99]// 000000003988: D3D70060 1D826140
	v_mfma_i32_16x16x32_i8 v[96:99], a[66:67], a[50:51], v[96:99]// 000000003990: D3D70060 1D826542
	v_mfma_i32_16x16x32_i8 v[96:99], a[68:69], a[52:53], v[96:99]// 000000003998: D3D70060 1D826944
	v_mfma_i32_16x16x32_i8 v[96:99], a[70:71], a[54:55], v[96:99]// 0000000039A0: D3D70060 1D826D46
	v_mfma_i32_16x16x32_i8 v[112:115], a[72:73], a[48:49], v[112:115]// 0000000039A8: D3D70070 1DC26148
	v_mfma_i32_16x16x32_i8 v[112:115], a[74:75], a[50:51], v[112:115]// 0000000039B0: D3D70070 1DC2654A
	v_mfma_i32_16x16x32_i8 v[112:115], a[76:77], a[52:53], v[112:115]// 0000000039B8: D3D70070 1DC2694C
	v_mfma_i32_16x16x32_i8 v[112:115], a[78:79], a[54:55], v[112:115]// 0000000039C0: D3D70070 1DC26D4E
	v_mfma_i32_16x16x32_i8 v[100:103], a[64:65], a[56:57], v[100:103]// 0000000039C8: D3D70064 1D927140
	s_add_u32 s60, 0x180, s80                                  // 0000000039D0: 803C50FF 00000180
	s_cmp_lt_u32 s60, s81                                      // 0000000039D8: BF0A513C
	s_cselect_b32 s57, s57, 0                                  // 0000000039DC: 85398039
	v_mfma_i32_16x16x32_i8 v[100:103], a[66:67], a[58:59], v[100:103]// 0000000039E0: D3D70064 1D927542
	s_add_u32 s60, 0x100, s80                                  // 0000000039E8: 803C50FF 00000100
	s_cmp_lt_u32 s60, s81                                      // 0000000039F0: BF0A513C
	s_cselect_b32 s58, s58, 0                                  // 0000000039F4: 853A803A
	v_mfma_i32_16x16x32_i8 v[100:103], a[68:69], a[60:61], v[100:103]// 0000000039F8: D3D70064 1D927944
	s_add_u32 s60, 0x100, s80                                  // 000000003A00: 803C50FF 00000100
	s_cmp_lt_u32 s60, s81                                      // 000000003A08: BF0A513C
	s_cselect_b32 s83, s83, 0                                  // 000000003A0C: 85538053
	v_mfma_i32_16x16x32_i8 v[100:103], a[70:71], a[62:63], v[100:103]// 000000003A10: D3D70064 1D927D46
	s_add_u32 s24, s58, s24                                    // 000000003A18: 8018183A
	s_addc_u32 s25, 0, s25                                     // 000000003A1C: 82191980
	v_mfma_i32_16x16x32_i8 v[116:119], a[72:73], a[56:57], v[116:119]// 000000003A20: D3D70074 1DD27148
	s_add_u32 s20, s57, s20                                    // 000000003A28: 80141439
	s_addc_u32 s21, 0, s21                                     // 000000003A2C: 82151580
	v_mfma_i32_16x16x32_i8 v[116:119], a[74:75], a[58:59], v[116:119]// 000000003A30: D3D70074 1DD2754A
	s_add_u32 s84, s83, s84                                    // 000000003A38: 80545453
	s_addc_u32 s85, 0, s85                                     // 000000003A3C: 82555580
	v_mfma_i32_16x16x32_i8 v[116:119], a[76:77], a[60:61], v[116:119]// 000000003A40: D3D70074 1DD2794C
	v_mfma_i32_16x16x32_i8 v[116:119], a[78:79], a[62:63], v[116:119]// 000000003A48: D3D70074 1DD27D4E
	s_addk_i32 s80, 0x80                                       // 000000003A50: B7500080
	s_cmp_lt_i32 s80, s81                                      // 000000003A54: BF045150
	s_cbranch_scc0 label_0774                                  // 000000003A58: BF84035D
	s_waitcnt vmcnt(12) lgkmcnt(0)                             // 000000003A5C: BF8C007C
	v_mfma_i32_16x16x32_i8 v[56:59], a[80:81], a[0:1], v[56:59]// 000000003A60: D3D70038 1CE20150
	v_mfma_i32_16x16x32_i8 v[56:59], a[82:83], a[2:3], v[56:59]// 000000003A68: D3D70038 1CE20552
	buffer_load_dwordx4 a[64:67], v54, s[24:27], 0 offen       // 000000003A70: E05C1000 80864036
	v_mfma_i32_16x16x32_i8 v[56:59], a[84:85], a[4:5], v[56:59]// 000000003A78: D3D70038 1CE20954
	v_mfma_i32_16x16x32_i8 v[56:59], a[86:87], a[6:7], v[56:59]// 000000003A80: D3D70038 1CE20D56
	v_mfma_i32_16x16x32_i8 v[72:75], a[88:89], a[0:1], v[72:75]// 000000003A88: D3D70048 1D220158
	v_mfma_i32_16x16x32_i8 v[72:75], a[90:91], a[2:3], v[72:75]// 000000003A90: D3D70048 1D22055A
	buffer_load_dwordx4 a[68:71], v54, s[24:27], 0 offen offset:1024// 000000003A98: E05C1400 80864436
	v_mfma_i32_16x16x32_i8 v[72:75], a[92:93], a[4:5], v[72:75]// 000000003AA0: D3D70048 1D22095C
	v_mfma_i32_16x16x32_i8 v[72:75], a[94:95], a[6:7], v[72:75]// 000000003AA8: D3D70048 1D220D5E
	v_mfma_i32_16x16x32_i8 v[60:63], a[80:81], a[8:9], v[60:63]// 000000003AB0: D3D7003C 1CF21150
	v_mfma_i32_16x16x32_i8 v[60:63], a[82:83], a[10:11], v[60:63]// 000000003AB8: D3D7003C 1CF21552
	buffer_load_dwordx4 a[72:75], v55, s[24:27], 0 offen       // 000000003AC0: E05C1000 80864837
	v_mfma_i32_16x16x32_i8 v[60:63], a[84:85], a[12:13], v[60:63]// 000000003AC8: D3D7003C 1CF21954
	v_mfma_i32_16x16x32_i8 v[60:63], a[86:87], a[14:15], v[60:63]// 000000003AD0: D3D7003C 1CF21D56
	v_mfma_i32_16x16x32_i8 v[76:79], a[88:89], a[8:9], v[76:79]// 000000003AD8: D3D7004C 1D321158
	v_mfma_i32_16x16x32_i8 v[76:79], a[90:91], a[10:11], v[76:79]// 000000003AE0: D3D7004C 1D32155A
	buffer_load_dwordx4 a[76:79], v55, s[24:27], 0 offen offset:1024// 000000003AE8: E05C1400 80864C37
	buffer_load_dword v46, s[20:23], 0 offen lds               // 000000003AF0: E0511000 8005002E
	s_add_u32 m0, 0x100, s49                                   // 000000003AF8: 807C31FF 00000100
	v_mfma_i32_16x16x32_i8 v[76:79], a[92:93], a[12:13], v[76:79]// 000000003B00: D3D7004C 1D32195C
	v_mfma_i32_16x16x32_i8 v[76:79], a[94:95], a[14:15], v[76:79]// 000000003B08: D3D7004C 1D321D5E
	buffer_load_dword v47, s[20:23], 0 offen lds               // 000000003B10: E0511000 8005002F
	s_add_u32 m0, 0x200, s49                                   // 000000003B18: 807C31FF 00000200
	v_mfma_i32_16x16x32_i8 v[64:67], a[80:81], a[16:17], v[64:67]// 000000003B20: D3D70040 1D022150
	v_mfma_i32_16x16x32_i8 v[64:67], a[82:83], a[18:19], v[64:67]// 000000003B28: D3D70040 1D022552
	buffer_load_dword v48, s[20:23], 0 offen lds               // 000000003B30: E0511000 80050030
	s_add_u32 m0, 0x300, s49                                   // 000000003B38: 807C31FF 00000300
	v_mfma_i32_16x16x32_i8 v[64:67], a[84:85], a[20:21], v[64:67]// 000000003B40: D3D70040 1D022954
	v_mfma_i32_16x16x32_i8 v[64:67], a[86:87], a[22:23], v[64:67]// 000000003B48: D3D70040 1D022D56
	buffer_load_dword v49, s[20:23], 0 offen lds               // 000000003B50: E0511000 80050031
	s_add_u32 m0, 0x400, s49                                   // 000000003B58: 807C31FF 00000400
	v_mfma_i32_16x16x32_i8 v[80:83], a[88:89], a[16:17], v[80:83]// 000000003B60: D3D70050 1D422158
	v_mfma_i32_16x16x32_i8 v[80:83], a[90:91], a[18:19], v[80:83]// 000000003B68: D3D70050 1D42255A
	buffer_load_dword v50, s[20:23], 0 offen lds               // 000000003B70: E0511000 80050032
	s_add_u32 m0, 0x500, s49                                   // 000000003B78: 807C31FF 00000500
	v_mfma_i32_16x16x32_i8 v[80:83], a[92:93], a[20:21], v[80:83]// 000000003B80: D3D70050 1D42295C
	v_mfma_i32_16x16x32_i8 v[80:83], a[94:95], a[22:23], v[80:83]// 000000003B88: D3D70050 1D422D5E
	buffer_load_dword v51, s[20:23], 0 offen lds               // 000000003B90: E0511000 80050033
	s_add_u32 m0, 0x600, s49                                   // 000000003B98: 807C31FF 00000600
	v_mfma_i32_16x16x32_i8 v[68:71], a[80:81], a[24:25], v[68:71]// 000000003BA0: D3D70044 1D123150
	v_mfma_i32_16x16x32_i8 v[68:71], a[82:83], a[26:27], v[68:71]// 000000003BA8: D3D70044 1D123552
	buffer_load_dword v52, s[20:23], 0 offen lds               // 000000003BB0: E0511000 80050034
	s_add_u32 m0, 0x700, s49                                   // 000000003BB8: 807C31FF 00000700
	v_mfma_i32_16x16x32_i8 v[68:71], a[84:85], a[28:29], v[68:71]// 000000003BC0: D3D70044 1D123954
	v_mfma_i32_16x16x32_i8 v[68:71], a[86:87], a[30:31], v[68:71]// 000000003BC8: D3D70044 1D123D56
	buffer_load_dword v53, s[20:23], 0 offen lds               // 000000003BD0: E0511000 80050035
	s_add_u32 m0, 0, s50                                       // 000000003BD8: 807C3280
	v_mfma_i32_16x16x32_i8 v[84:87], a[88:89], a[24:25], v[84:87]// 000000003BDC: D3D70054 1D523158
	v_mfma_i32_16x16x32_i8 v[84:87], a[90:91], a[26:27], v[84:87]// 000000003BE4: D3D70054 1D52355A
	v_mfma_i32_16x16x32_i8 v[84:87], a[92:93], a[28:29], v[84:87]// 000000003BEC: D3D70054 1D52395C
	v_mfma_i32_16x16x32_i8 v[84:87], a[94:95], a[30:31], v[84:87]// 000000003BF4: D3D70054 1D523D5E
	s_waitcnt vmcnt(12)                                        // 000000003BFC: BF8C0F7C
	s_barrier                                                  // 000000003C00: BF8A0000
	v_mfma_i32_16x16x32_i8 v[88:91], a[96:97], a[0:1], v[88:91]// 000000003C04: D3D70058 1D620160
	v_mfma_i32_16x16x32_i8 v[88:91], a[98:99], a[2:3], v[88:91]// 000000003C0C: D3D70058 1D620562
	buffer_load_dwordx4 a[80:83], v54, s[84:87], 0 offen       // 000000003C14: E05C1000 80955036
	v_mfma_i32_16x16x32_i8 v[88:91], a[100:101], a[4:5], v[88:91]// 000000003C1C: D3D70058 1D620964
	v_mfma_i32_16x16x32_i8 v[88:91], a[102:103], a[6:7], v[88:91]// 000000003C24: D3D70058 1D620D66
	ds_read_b128 a[32:35], v2                                  // 000000003C2C: DBFE0000 20000002
	ds_read_b128 a[36:39], v2 offset:64                        // 000000003C34: DBFE0040 24000002
	v_mfma_i32_16x16x32_i8 v[104:107], a[104:105], a[0:1], v[104:107]// 000000003C3C: D3D70068 1DA20168
	v_mfma_i32_16x16x32_i8 v[104:107], a[106:107], a[2:3], v[104:107]// 000000003C44: D3D70068 1DA2056A
	buffer_load_dwordx4 a[84:87], v54, s[84:87], 0 offen offset:1024// 000000003C4C: E05C1400 80955436
	v_mfma_i32_16x16x32_i8 v[104:107], a[108:109], a[4:5], v[104:107]// 000000003C54: D3D70068 1DA2096C
	v_mfma_i32_16x16x32_i8 v[104:107], a[110:111], a[6:7], v[104:107]// 000000003C5C: D3D70068 1DA20D6E
	ds_read_b128 a[40:43], v2 offset:512                       // 000000003C64: DBFE0200 28000002
	ds_read_b128 a[44:47], v2 offset:576                       // 000000003C6C: DBFE0240 2C000002
	v_mfma_i32_16x16x32_i8 v[92:95], a[96:97], a[8:9], v[92:95]// 000000003C74: D3D7005C 1D721160
	v_mfma_i32_16x16x32_i8 v[92:95], a[98:99], a[10:11], v[92:95]// 000000003C7C: D3D7005C 1D721562
	buffer_load_dwordx4 a[88:91], v55, s[84:87], 0 offen       // 000000003C84: E05C1000 80955837
	v_mfma_i32_16x16x32_i8 v[92:95], a[100:101], a[12:13], v[92:95]// 000000003C8C: D3D7005C 1D721964
	v_mfma_i32_16x16x32_i8 v[92:95], a[102:103], a[14:15], v[92:95]// 000000003C94: D3D7005C 1D721D66
	ds_read_b128 a[48:51], v2 offset:1024                      // 000000003C9C: DBFE0400 30000002
	ds_read_b128 a[52:55], v2 offset:1088                      // 000000003CA4: DBFE0440 34000002
	v_mfma_i32_16x16x32_i8 v[108:111], a[104:105], a[8:9], v[108:111]// 000000003CAC: D3D7006C 1DB21168
	v_mfma_i32_16x16x32_i8 v[108:111], a[106:107], a[10:11], v[108:111]// 000000003CB4: D3D7006C 1DB2156A
	buffer_load_dwordx4 a[92:95], v55, s[84:87], 0 offen offset:1024// 000000003CBC: E05C1400 80955C37
	v_mfma_i32_16x16x32_i8 v[108:111], a[108:109], a[12:13], v[108:111]// 000000003CC4: D3D7006C 1DB2196C
	v_mfma_i32_16x16x32_i8 v[108:111], a[110:111], a[14:15], v[108:111]// 000000003CCC: D3D7006C 1DB21D6E
	ds_read_b128 a[56:59], v2 offset:1536                      // 000000003CD4: DBFE0600 38000002
	ds_read_b128 a[60:63], v2 offset:1600                      // 000000003CDC: DBFE0640 3C000002
	v_mfma_i32_16x16x32_i8 v[96:99], a[96:97], a[16:17], v[96:99]// 000000003CE4: D3D70060 1D822160
	v_mfma_i32_16x16x32_i8 v[96:99], a[98:99], a[18:19], v[96:99]// 000000003CEC: D3D70060 1D822562
	v_mfma_i32_16x16x32_i8 v[96:99], a[100:101], a[20:21], v[96:99]// 000000003CF4: D3D70060 1D822964
	v_mfma_i32_16x16x32_i8 v[96:99], a[102:103], a[22:23], v[96:99]// 000000003CFC: D3D70060 1D822D66
	v_mfma_i32_16x16x32_i8 v[112:115], a[104:105], a[16:17], v[112:115]// 000000003D04: D3D70070 1DC22168
	v_mfma_i32_16x16x32_i8 v[112:115], a[106:107], a[18:19], v[112:115]// 000000003D0C: D3D70070 1DC2256A
	v_mfma_i32_16x16x32_i8 v[112:115], a[108:109], a[20:21], v[112:115]// 000000003D14: D3D70070 1DC2296C
	v_mfma_i32_16x16x32_i8 v[112:115], a[110:111], a[22:23], v[112:115]// 000000003D1C: D3D70070 1DC22D6E
	v_mfma_i32_16x16x32_i8 v[100:103], a[96:97], a[24:25], v[100:103]// 000000003D24: D3D70064 1D923160
	s_add_u32 s60, 0x180, s80                                  // 000000003D2C: 803C50FF 00000180
	s_cmp_lt_u32 s60, s81                                      // 000000003D34: BF0A513C
	s_cselect_b32 s57, s57, 0                                  // 000000003D38: 85398039
	v_mfma_i32_16x16x32_i8 v[100:103], a[98:99], a[26:27], v[100:103]// 000000003D3C: D3D70064 1D923562
	s_add_u32 s60, 0x100, s80                                  // 000000003D44: 803C50FF 00000100
	s_cmp_lt_u32 s60, s81                                      // 000000003D4C: BF0A513C
	s_cselect_b32 s58, s58, 0                                  // 000000003D50: 853A803A
	v_mfma_i32_16x16x32_i8 v[100:103], a[100:101], a[28:29], v[100:103]// 000000003D54: D3D70064 1D923964
	s_add_u32 s60, 0x100, s80                                  // 000000003D5C: 803C50FF 00000100
	s_cmp_lt_u32 s60, s81                                      // 000000003D64: BF0A513C
	s_cselect_b32 s83, s83, 0                                  // 000000003D68: 85538053
	v_mfma_i32_16x16x32_i8 v[100:103], a[102:103], a[30:31], v[100:103]// 000000003D6C: D3D70064 1D923D66
	s_add_u32 s24, s58, s24                                    // 000000003D74: 8018183A
	s_addc_u32 s25, 0, s25                                     // 000000003D78: 82191980
	v_mfma_i32_16x16x32_i8 v[116:119], a[104:105], a[24:25], v[116:119]// 000000003D7C: D3D70074 1DD23168
	s_add_u32 s20, s57, s20                                    // 000000003D84: 80141439
	s_addc_u32 s21, 0, s21                                     // 000000003D88: 82151580
	v_mfma_i32_16x16x32_i8 v[116:119], a[106:107], a[26:27], v[116:119]// 000000003D8C: D3D70074 1DD2356A
	s_add_u32 s84, s83, s84                                    // 000000003D94: 80545453
	s_addc_u32 s85, 0, s85                                     // 000000003D98: 82555580
	v_mfma_i32_16x16x32_i8 v[116:119], a[108:109], a[28:29], v[116:119]// 000000003D9C: D3D70074 1DD2396C
	v_mfma_i32_16x16x32_i8 v[116:119], a[110:111], a[30:31], v[116:119]// 000000003DA4: D3D70074 1DD23D6E
	s_addk_i32 s80, 0x80                                       // 000000003DAC: B7500080
	s_cmp_lt_i32 s80, s81                                      // 000000003DB0: BF045150
	s_cbranch_scc0 label_0774                                  // 000000003DB4: BF840286
	s_waitcnt vmcnt(12) lgkmcnt(0)                             // 000000003DB8: BF8C007C
	v_mfma_i32_16x16x32_i8 v[56:59], a[64:65], a[32:33], v[56:59]// 000000003DBC: D3D70038 1CE24140
	v_mfma_i32_16x16x32_i8 v[56:59], a[66:67], a[34:35], v[56:59]// 000000003DC4: D3D70038 1CE24542
	buffer_load_dwordx4 a[96:99], v54, s[24:27], 0 offen       // 000000003DCC: E05C1000 80866036
	v_mfma_i32_16x16x32_i8 v[56:59], a[68:69], a[36:37], v[56:59]// 000000003DD4: D3D70038 1CE24944
	v_mfma_i32_16x16x32_i8 v[56:59], a[70:71], a[38:39], v[56:59]// 000000003DDC: D3D70038 1CE24D46
	v_mfma_i32_16x16x32_i8 v[72:75], a[72:73], a[32:33], v[72:75]// 000000003DE4: D3D70048 1D224148
	v_mfma_i32_16x16x32_i8 v[72:75], a[74:75], a[34:35], v[72:75]// 000000003DEC: D3D70048 1D22454A
	buffer_load_dwordx4 a[100:103], v54, s[24:27], 0 offen offset:1024// 000000003DF4: E05C1400 80866436
	v_mfma_i32_16x16x32_i8 v[72:75], a[76:77], a[36:37], v[72:75]// 000000003DFC: D3D70048 1D22494C
	v_mfma_i32_16x16x32_i8 v[72:75], a[78:79], a[38:39], v[72:75]// 000000003E04: D3D70048 1D224D4E
	v_mfma_i32_16x16x32_i8 v[60:63], a[64:65], a[40:41], v[60:63]// 000000003E0C: D3D7003C 1CF25140
	v_mfma_i32_16x16x32_i8 v[60:63], a[66:67], a[42:43], v[60:63]// 000000003E14: D3D7003C 1CF25542
	buffer_load_dwordx4 a[104:107], v55, s[24:27], 0 offen     // 000000003E1C: E05C1000 80866837
	v_mfma_i32_16x16x32_i8 v[60:63], a[68:69], a[44:45], v[60:63]// 000000003E24: D3D7003C 1CF25944
	v_mfma_i32_16x16x32_i8 v[60:63], a[70:71], a[46:47], v[60:63]// 000000003E2C: D3D7003C 1CF25D46
	v_mfma_i32_16x16x32_i8 v[76:79], a[72:73], a[40:41], v[76:79]// 000000003E34: D3D7004C 1D325148
	v_mfma_i32_16x16x32_i8 v[76:79], a[74:75], a[42:43], v[76:79]// 000000003E3C: D3D7004C 1D32554A
	buffer_load_dwordx4 a[108:111], v55, s[24:27], 0 offen offset:1024// 000000003E44: E05C1400 80866C37
	buffer_load_dword v46, s[20:23], 0 offen lds               // 000000003E4C: E0511000 8005002E
	s_add_u32 m0, 0x100, s50                                   // 000000003E54: 807C32FF 00000100
	v_mfma_i32_16x16x32_i8 v[76:79], a[76:77], a[44:45], v[76:79]// 000000003E5C: D3D7004C 1D32594C
	v_mfma_i32_16x16x32_i8 v[76:79], a[78:79], a[46:47], v[76:79]// 000000003E64: D3D7004C 1D325D4E
	buffer_load_dword v47, s[20:23], 0 offen lds               // 000000003E6C: E0511000 8005002F
	s_add_u32 m0, 0x200, s50                                   // 000000003E74: 807C32FF 00000200
	v_mfma_i32_16x16x32_i8 v[64:67], a[64:65], a[48:49], v[64:67]// 000000003E7C: D3D70040 1D026140
	v_mfma_i32_16x16x32_i8 v[64:67], a[66:67], a[50:51], v[64:67]// 000000003E84: D3D70040 1D026542
	buffer_load_dword v48, s[20:23], 0 offen lds               // 000000003E8C: E0511000 80050030
	s_add_u32 m0, 0x300, s50                                   // 000000003E94: 807C32FF 00000300
	v_mfma_i32_16x16x32_i8 v[64:67], a[68:69], a[52:53], v[64:67]// 000000003E9C: D3D70040 1D026944
	v_mfma_i32_16x16x32_i8 v[64:67], a[70:71], a[54:55], v[64:67]// 000000003EA4: D3D70040 1D026D46
	buffer_load_dword v49, s[20:23], 0 offen lds               // 000000003EAC: E0511000 80050031
	s_add_u32 m0, 0x400, s50                                   // 000000003EB4: 807C32FF 00000400
	v_mfma_i32_16x16x32_i8 v[80:83], a[72:73], a[48:49], v[80:83]// 000000003EBC: D3D70050 1D426148
	v_mfma_i32_16x16x32_i8 v[80:83], a[74:75], a[50:51], v[80:83]// 000000003EC4: D3D70050 1D42654A
	buffer_load_dword v50, s[20:23], 0 offen lds               // 000000003ECC: E0511000 80050032
	s_add_u32 m0, 0x500, s50                                   // 000000003ED4: 807C32FF 00000500
	v_mfma_i32_16x16x32_i8 v[80:83], a[76:77], a[52:53], v[80:83]// 000000003EDC: D3D70050 1D42694C
	v_mfma_i32_16x16x32_i8 v[80:83], a[78:79], a[54:55], v[80:83]// 000000003EE4: D3D70050 1D426D4E
	buffer_load_dword v51, s[20:23], 0 offen lds               // 000000003EEC: E0511000 80050033
	s_add_u32 m0, 0x600, s50                                   // 000000003EF4: 807C32FF 00000600
	v_mfma_i32_16x16x32_i8 v[68:71], a[64:65], a[56:57], v[68:71]// 000000003EFC: D3D70044 1D127140
	v_mfma_i32_16x16x32_i8 v[68:71], a[66:67], a[58:59], v[68:71]// 000000003F04: D3D70044 1D127542
	buffer_load_dword v52, s[20:23], 0 offen lds               // 000000003F0C: E0511000 80050034
	s_add_u32 m0, 0x700, s50                                   // 000000003F14: 807C32FF 00000700
	v_mfma_i32_16x16x32_i8 v[68:71], a[68:69], a[60:61], v[68:71]// 000000003F1C: D3D70044 1D127944
	v_mfma_i32_16x16x32_i8 v[68:71], a[70:71], a[62:63], v[68:71]// 000000003F24: D3D70044 1D127D46
	buffer_load_dword v53, s[20:23], 0 offen lds               // 000000003F2C: E0511000 80050035
	s_add_u32 m0, 0, s48                                       // 000000003F34: 807C3080
	v_mfma_i32_16x16x32_i8 v[84:87], a[72:73], a[56:57], v[84:87]// 000000003F38: D3D70054 1D527148
	v_mfma_i32_16x16x32_i8 v[84:87], a[74:75], a[58:59], v[84:87]// 000000003F40: D3D70054 1D52754A
	v_mfma_i32_16x16x32_i8 v[84:87], a[76:77], a[60:61], v[84:87]// 000000003F48: D3D70054 1D52794C
	v_mfma_i32_16x16x32_i8 v[84:87], a[78:79], a[62:63], v[84:87]// 000000003F50: D3D70054 1D527D4E
	s_waitcnt vmcnt(12)                                        // 000000003F58: BF8C0F7C
	s_barrier                                                  // 000000003F5C: BF8A0000
	v_mfma_i32_16x16x32_i8 v[88:91], a[80:81], a[32:33], v[88:91]// 000000003F60: D3D70058 1D624150
	v_mfma_i32_16x16x32_i8 v[88:91], a[82:83], a[34:35], v[88:91]// 000000003F68: D3D70058 1D624552
	buffer_load_dwordx4 a[64:67], v54, s[84:87], 0 offen       // 000000003F70: E05C1000 80954036
	v_mfma_i32_16x16x32_i8 v[88:91], a[84:85], a[36:37], v[88:91]// 000000003F78: D3D70058 1D624954
	v_mfma_i32_16x16x32_i8 v[88:91], a[86:87], a[38:39], v[88:91]// 000000003F80: D3D70058 1D624D56
	ds_read_b128 a[0:3], v2 offset:8320                        // 000000003F88: DBFE2080 00000002
	ds_read_b128 a[4:7], v2 offset:8384                        // 000000003F90: DBFE20C0 04000002
	v_mfma_i32_16x16x32_i8 v[104:107], a[88:89], a[32:33], v[104:107]// 000000003F98: D3D70068 1DA24158
	v_mfma_i32_16x16x32_i8 v[104:107], a[90:91], a[34:35], v[104:107]// 000000003FA0: D3D70068 1DA2455A
	buffer_load_dwordx4 a[68:71], v54, s[84:87], 0 offen offset:1024// 000000003FA8: E05C1400 80954436
	v_mfma_i32_16x16x32_i8 v[104:107], a[92:93], a[36:37], v[104:107]// 000000003FB0: D3D70068 1DA2495C
	v_mfma_i32_16x16x32_i8 v[104:107], a[94:95], a[38:39], v[104:107]// 000000003FB8: D3D70068 1DA24D5E
	ds_read_b128 a[8:11], v2 offset:8832                       // 000000003FC0: DBFE2280 08000002
	ds_read_b128 a[12:15], v2 offset:8896                      // 000000003FC8: DBFE22C0 0C000002
	v_mfma_i32_16x16x32_i8 v[92:95], a[80:81], a[40:41], v[92:95]// 000000003FD0: D3D7005C 1D725150
	v_mfma_i32_16x16x32_i8 v[92:95], a[82:83], a[42:43], v[92:95]// 000000003FD8: D3D7005C 1D725552
	buffer_load_dwordx4 a[72:75], v55, s[84:87], 0 offen       // 000000003FE0: E05C1000 80954837
	v_mfma_i32_16x16x32_i8 v[92:95], a[84:85], a[44:45], v[92:95]// 000000003FE8: D3D7005C 1D725954
	v_mfma_i32_16x16x32_i8 v[92:95], a[86:87], a[46:47], v[92:95]// 000000003FF0: D3D7005C 1D725D56
	ds_read_b128 a[16:19], v2 offset:9344                      // 000000003FF8: DBFE2480 10000002
	ds_read_b128 a[20:23], v2 offset:9408                      // 000000004000: DBFE24C0 14000002
	v_mfma_i32_16x16x32_i8 v[108:111], a[88:89], a[40:41], v[108:111]// 000000004008: D3D7006C 1DB25158
	v_mfma_i32_16x16x32_i8 v[108:111], a[90:91], a[42:43], v[108:111]// 000000004010: D3D7006C 1DB2555A
	buffer_load_dwordx4 a[76:79], v55, s[84:87], 0 offen offset:1024// 000000004018: E05C1400 80954C37
	v_mfma_i32_16x16x32_i8 v[108:111], a[92:93], a[44:45], v[108:111]// 000000004020: D3D7006C 1DB2595C
	v_mfma_i32_16x16x32_i8 v[108:111], a[94:95], a[46:47], v[108:111]// 000000004028: D3D7006C 1DB25D5E
	ds_read_b128 a[24:27], v2 offset:9856                      // 000000004030: DBFE2680 18000002
	ds_read_b128 a[28:31], v2 offset:9920                      // 000000004038: DBFE26C0 1C000002
	v_mfma_i32_16x16x32_i8 v[96:99], a[80:81], a[48:49], v[96:99]// 000000004040: D3D70060 1D826150
	v_mfma_i32_16x16x32_i8 v[96:99], a[82:83], a[50:51], v[96:99]// 000000004048: D3D70060 1D826552
	v_mfma_i32_16x16x32_i8 v[96:99], a[84:85], a[52:53], v[96:99]// 000000004050: D3D70060 1D826954
	v_mfma_i32_16x16x32_i8 v[96:99], a[86:87], a[54:55], v[96:99]// 000000004058: D3D70060 1D826D56
	v_mfma_i32_16x16x32_i8 v[112:115], a[88:89], a[48:49], v[112:115]// 000000004060: D3D70070 1DC26158
	v_mfma_i32_16x16x32_i8 v[112:115], a[90:91], a[50:51], v[112:115]// 000000004068: D3D70070 1DC2655A
	v_mfma_i32_16x16x32_i8 v[112:115], a[92:93], a[52:53], v[112:115]// 000000004070: D3D70070 1DC2695C
	v_mfma_i32_16x16x32_i8 v[112:115], a[94:95], a[54:55], v[112:115]// 000000004078: D3D70070 1DC26D5E
	v_mfma_i32_16x16x32_i8 v[100:103], a[80:81], a[56:57], v[100:103]// 000000004080: D3D70064 1D927150
	s_add_u32 s60, 0x180, s80                                  // 000000004088: 803C50FF 00000180
	s_cmp_lt_u32 s60, s81                                      // 000000004090: BF0A513C
	s_cselect_b32 s57, s57, 0                                  // 000000004094: 85398039
	v_mfma_i32_16x16x32_i8 v[100:103], a[82:83], a[58:59], v[100:103]// 000000004098: D3D70064 1D927552
	s_add_u32 s60, 0x100, s80                                  // 0000000040A0: 803C50FF 00000100
	s_cmp_lt_u32 s60, s81                                      // 0000000040A8: BF0A513C
	s_cselect_b32 s58, s58, 0                                  // 0000000040AC: 853A803A
	v_mfma_i32_16x16x32_i8 v[100:103], a[84:85], a[60:61], v[100:103]// 0000000040B0: D3D70064 1D927954
	s_add_u32 s60, 0x100, s80                                  // 0000000040B8: 803C50FF 00000100
	s_cmp_lt_u32 s60, s81                                      // 0000000040C0: BF0A513C
	s_cselect_b32 s83, s83, 0                                  // 0000000040C4: 85538053
	v_mfma_i32_16x16x32_i8 v[100:103], a[86:87], a[62:63], v[100:103]// 0000000040C8: D3D70064 1D927D56
	s_add_u32 s24, s58, s24                                    // 0000000040D0: 8018183A
	s_addc_u32 s25, 0, s25                                     // 0000000040D4: 82191980
	v_mfma_i32_16x16x32_i8 v[116:119], a[88:89], a[56:57], v[116:119]// 0000000040D8: D3D70074 1DD27158
	s_add_u32 s20, s57, s20                                    // 0000000040E0: 80141439
	s_addc_u32 s21, 0, s21                                     // 0000000040E4: 82151580
	v_mfma_i32_16x16x32_i8 v[116:119], a[90:91], a[58:59], v[116:119]// 0000000040E8: D3D70074 1DD2755A
	s_add_u32 s84, s83, s84                                    // 0000000040F0: 80545453
	s_addc_u32 s85, 0, s85                                     // 0000000040F4: 82555580
	v_mfma_i32_16x16x32_i8 v[116:119], a[92:93], a[60:61], v[116:119]// 0000000040F8: D3D70074 1DD2795C
	v_mfma_i32_16x16x32_i8 v[116:119], a[94:95], a[62:63], v[116:119]// 000000004100: D3D70074 1DD27D5E
	s_addk_i32 s80, 0x80                                       // 000000004108: B7500080
	s_cmp_lt_i32 s80, s81                                      // 00000000410C: BF045150
	s_cbranch_scc0 label_0774                                  // 000000004110: BF8401AF
	s_waitcnt vmcnt(12) lgkmcnt(0)                             // 000000004114: BF8C007C
	v_mfma_i32_16x16x32_i8 v[56:59], a[96:97], a[0:1], v[56:59]// 000000004118: D3D70038 1CE20160
	v_mfma_i32_16x16x32_i8 v[56:59], a[98:99], a[2:3], v[56:59]// 000000004120: D3D70038 1CE20562
	buffer_load_dwordx4 a[80:83], v54, s[24:27], 0 offen       // 000000004128: E05C1000 80865036
	v_mfma_i32_16x16x32_i8 v[56:59], a[100:101], a[4:5], v[56:59]// 000000004130: D3D70038 1CE20964
	v_mfma_i32_16x16x32_i8 v[56:59], a[102:103], a[6:7], v[56:59]// 000000004138: D3D70038 1CE20D66
	v_mfma_i32_16x16x32_i8 v[72:75], a[104:105], a[0:1], v[72:75]// 000000004140: D3D70048 1D220168
	v_mfma_i32_16x16x32_i8 v[72:75], a[106:107], a[2:3], v[72:75]// 000000004148: D3D70048 1D22056A
	buffer_load_dwordx4 a[84:87], v54, s[24:27], 0 offen offset:1024// 000000004150: E05C1400 80865436
	v_mfma_i32_16x16x32_i8 v[72:75], a[108:109], a[4:5], v[72:75]// 000000004158: D3D70048 1D22096C
	v_mfma_i32_16x16x32_i8 v[72:75], a[110:111], a[6:7], v[72:75]// 000000004160: D3D70048 1D220D6E
	v_mfma_i32_16x16x32_i8 v[60:63], a[96:97], a[8:9], v[60:63]// 000000004168: D3D7003C 1CF21160
	v_mfma_i32_16x16x32_i8 v[60:63], a[98:99], a[10:11], v[60:63]// 000000004170: D3D7003C 1CF21562
	buffer_load_dwordx4 a[88:91], v55, s[24:27], 0 offen       // 000000004178: E05C1000 80865837
	v_mfma_i32_16x16x32_i8 v[60:63], a[100:101], a[12:13], v[60:63]// 000000004180: D3D7003C 1CF21964
	v_mfma_i32_16x16x32_i8 v[60:63], a[102:103], a[14:15], v[60:63]// 000000004188: D3D7003C 1CF21D66
	v_mfma_i32_16x16x32_i8 v[76:79], a[104:105], a[8:9], v[76:79]// 000000004190: D3D7004C 1D321168
	v_mfma_i32_16x16x32_i8 v[76:79], a[106:107], a[10:11], v[76:79]// 000000004198: D3D7004C 1D32156A
	buffer_load_dwordx4 a[92:95], v55, s[24:27], 0 offen offset:1024// 0000000041A0: E05C1400 80865C37
	buffer_load_dword v46, s[20:23], 0 offen lds               // 0000000041A8: E0511000 8005002E
	s_add_u32 m0, 0x100, s48                                   // 0000000041B0: 807C30FF 00000100
	v_mfma_i32_16x16x32_i8 v[76:79], a[108:109], a[12:13], v[76:79]// 0000000041B8: D3D7004C 1D32196C
	v_mfma_i32_16x16x32_i8 v[76:79], a[110:111], a[14:15], v[76:79]// 0000000041C0: D3D7004C 1D321D6E
	buffer_load_dword v47, s[20:23], 0 offen lds               // 0000000041C8: E0511000 8005002F
	s_add_u32 m0, 0x200, s48                                   // 0000000041D0: 807C30FF 00000200
	v_mfma_i32_16x16x32_i8 v[64:67], a[96:97], a[16:17], v[64:67]// 0000000041D8: D3D70040 1D022160
	v_mfma_i32_16x16x32_i8 v[64:67], a[98:99], a[18:19], v[64:67]// 0000000041E0: D3D70040 1D022562
	buffer_load_dword v48, s[20:23], 0 offen lds               // 0000000041E8: E0511000 80050030
	s_add_u32 m0, 0x300, s48                                   // 0000000041F0: 807C30FF 00000300
	v_mfma_i32_16x16x32_i8 v[64:67], a[100:101], a[20:21], v[64:67]// 0000000041F8: D3D70040 1D022964
	v_mfma_i32_16x16x32_i8 v[64:67], a[102:103], a[22:23], v[64:67]// 000000004200: D3D70040 1D022D66
	buffer_load_dword v49, s[20:23], 0 offen lds               // 000000004208: E0511000 80050031
	s_add_u32 m0, 0x400, s48                                   // 000000004210: 807C30FF 00000400
	v_mfma_i32_16x16x32_i8 v[80:83], a[104:105], a[16:17], v[80:83]// 000000004218: D3D70050 1D422168
	v_mfma_i32_16x16x32_i8 v[80:83], a[106:107], a[18:19], v[80:83]// 000000004220: D3D70050 1D42256A
	buffer_load_dword v50, s[20:23], 0 offen lds               // 000000004228: E0511000 80050032
	s_add_u32 m0, 0x500, s48                                   // 000000004230: 807C30FF 00000500
	v_mfma_i32_16x16x32_i8 v[80:83], a[108:109], a[20:21], v[80:83]// 000000004238: D3D70050 1D42296C
	v_mfma_i32_16x16x32_i8 v[80:83], a[110:111], a[22:23], v[80:83]// 000000004240: D3D70050 1D422D6E
	buffer_load_dword v51, s[20:23], 0 offen lds               // 000000004248: E0511000 80050033
	s_add_u32 m0, 0x600, s48                                   // 000000004250: 807C30FF 00000600
	v_mfma_i32_16x16x32_i8 v[68:71], a[96:97], a[24:25], v[68:71]// 000000004258: D3D70044 1D123160
	v_mfma_i32_16x16x32_i8 v[68:71], a[98:99], a[26:27], v[68:71]// 000000004260: D3D70044 1D123562
	buffer_load_dword v52, s[20:23], 0 offen lds               // 000000004268: E0511000 80050034
	s_add_u32 m0, 0x700, s48                                   // 000000004270: 807C30FF 00000700
	v_mfma_i32_16x16x32_i8 v[68:71], a[100:101], a[28:29], v[68:71]// 000000004278: D3D70044 1D123964
	v_mfma_i32_16x16x32_i8 v[68:71], a[102:103], a[30:31], v[68:71]// 000000004280: D3D70044 1D123D66
	buffer_load_dword v53, s[20:23], 0 offen lds               // 000000004288: E0511000 80050035
	s_add_u32 m0, 0, s49                                       // 000000004290: 807C3180
	v_mfma_i32_16x16x32_i8 v[84:87], a[104:105], a[24:25], v[84:87]// 000000004294: D3D70054 1D523168
	v_mfma_i32_16x16x32_i8 v[84:87], a[106:107], a[26:27], v[84:87]// 00000000429C: D3D70054 1D52356A
	v_mfma_i32_16x16x32_i8 v[84:87], a[108:109], a[28:29], v[84:87]// 0000000042A4: D3D70054 1D52396C
	v_mfma_i32_16x16x32_i8 v[84:87], a[110:111], a[30:31], v[84:87]// 0000000042AC: D3D70054 1D523D6E
	s_waitcnt vmcnt(12)                                        // 0000000042B4: BF8C0F7C
	s_barrier                                                  // 0000000042B8: BF8A0000
	v_mfma_i32_16x16x32_i8 v[88:91], a[64:65], a[0:1], v[88:91]// 0000000042BC: D3D70058 1D620140
	v_mfma_i32_16x16x32_i8 v[88:91], a[66:67], a[2:3], v[88:91]// 0000000042C4: D3D70058 1D620542
	buffer_load_dwordx4 a[96:99], v54, s[84:87], 0 offen       // 0000000042CC: E05C1000 80956036
	v_mfma_i32_16x16x32_i8 v[88:91], a[68:69], a[4:5], v[88:91]// 0000000042D4: D3D70058 1D620944
	v_mfma_i32_16x16x32_i8 v[88:91], a[70:71], a[6:7], v[88:91]// 0000000042DC: D3D70058 1D620D46
	ds_read_b128 a[32:35], v2 offset:16640                     // 0000000042E4: DBFE4100 20000002
	ds_read_b128 a[36:39], v2 offset:16704                     // 0000000042EC: DBFE4140 24000002
	v_mfma_i32_16x16x32_i8 v[104:107], a[72:73], a[0:1], v[104:107]// 0000000042F4: D3D70068 1DA20148
	v_mfma_i32_16x16x32_i8 v[104:107], a[74:75], a[2:3], v[104:107]// 0000000042FC: D3D70068 1DA2054A
	buffer_load_dwordx4 a[100:103], v54, s[84:87], 0 offen offset:1024// 000000004304: E05C1400 80956436
	v_mfma_i32_16x16x32_i8 v[104:107], a[76:77], a[4:5], v[104:107]// 00000000430C: D3D70068 1DA2094C
	v_mfma_i32_16x16x32_i8 v[104:107], a[78:79], a[6:7], v[104:107]// 000000004314: D3D70068 1DA20D4E
	ds_read_b128 a[40:43], v2 offset:17152                     // 00000000431C: DBFE4300 28000002
	ds_read_b128 a[44:47], v2 offset:17216                     // 000000004324: DBFE4340 2C000002
	v_mfma_i32_16x16x32_i8 v[92:95], a[64:65], a[8:9], v[92:95]// 00000000432C: D3D7005C 1D721140
	v_mfma_i32_16x16x32_i8 v[92:95], a[66:67], a[10:11], v[92:95]// 000000004334: D3D7005C 1D721542
	buffer_load_dwordx4 a[104:107], v55, s[84:87], 0 offen     // 00000000433C: E05C1000 80956837
	v_mfma_i32_16x16x32_i8 v[92:95], a[68:69], a[12:13], v[92:95]// 000000004344: D3D7005C 1D721944
	v_mfma_i32_16x16x32_i8 v[92:95], a[70:71], a[14:15], v[92:95]// 00000000434C: D3D7005C 1D721D46
	ds_read_b128 a[48:51], v2 offset:17664                     // 000000004354: DBFE4500 30000002
	ds_read_b128 a[52:55], v2 offset:17728                     // 00000000435C: DBFE4540 34000002
	v_mfma_i32_16x16x32_i8 v[108:111], a[72:73], a[8:9], v[108:111]// 000000004364: D3D7006C 1DB21148
	v_mfma_i32_16x16x32_i8 v[108:111], a[74:75], a[10:11], v[108:111]// 00000000436C: D3D7006C 1DB2154A
	buffer_load_dwordx4 a[108:111], v55, s[84:87], 0 offen offset:1024// 000000004374: E05C1400 80956C37
	v_mfma_i32_16x16x32_i8 v[108:111], a[76:77], a[12:13], v[108:111]// 00000000437C: D3D7006C 1DB2194C
	v_mfma_i32_16x16x32_i8 v[108:111], a[78:79], a[14:15], v[108:111]// 000000004384: D3D7006C 1DB21D4E
	ds_read_b128 a[56:59], v2 offset:18176                     // 00000000438C: DBFE4700 38000002
	ds_read_b128 a[60:63], v2 offset:18240                     // 000000004394: DBFE4740 3C000002
	v_mfma_i32_16x16x32_i8 v[96:99], a[64:65], a[16:17], v[96:99]// 00000000439C: D3D70060 1D822140
	v_mfma_i32_16x16x32_i8 v[96:99], a[66:67], a[18:19], v[96:99]// 0000000043A4: D3D70060 1D822542
	v_mfma_i32_16x16x32_i8 v[96:99], a[68:69], a[20:21], v[96:99]// 0000000043AC: D3D70060 1D822944
	v_mfma_i32_16x16x32_i8 v[96:99], a[70:71], a[22:23], v[96:99]// 0000000043B4: D3D70060 1D822D46
	v_mfma_i32_16x16x32_i8 v[112:115], a[72:73], a[16:17], v[112:115]// 0000000043BC: D3D70070 1DC22148
	v_mfma_i32_16x16x32_i8 v[112:115], a[74:75], a[18:19], v[112:115]// 0000000043C4: D3D70070 1DC2254A
	v_mfma_i32_16x16x32_i8 v[112:115], a[76:77], a[20:21], v[112:115]// 0000000043CC: D3D70070 1DC2294C
	v_mfma_i32_16x16x32_i8 v[112:115], a[78:79], a[22:23], v[112:115]// 0000000043D4: D3D70070 1DC22D4E
	v_mfma_i32_16x16x32_i8 v[100:103], a[64:65], a[24:25], v[100:103]// 0000000043DC: D3D70064 1D923140
	s_add_u32 s60, 0x180, s80                                  // 0000000043E4: 803C50FF 00000180
	s_cmp_lt_u32 s60, s81                                      // 0000000043EC: BF0A513C
	s_cselect_b32 s57, s57, 0                                  // 0000000043F0: 85398039
	v_mfma_i32_16x16x32_i8 v[100:103], a[66:67], a[26:27], v[100:103]// 0000000043F4: D3D70064 1D923542
	s_add_u32 s60, 0x100, s80                                  // 0000000043FC: 803C50FF 00000100
	s_cmp_lt_u32 s60, s81                                      // 000000004404: BF0A513C
	s_cselect_b32 s58, s58, 0                                  // 000000004408: 853A803A
	v_mfma_i32_16x16x32_i8 v[100:103], a[68:69], a[28:29], v[100:103]// 00000000440C: D3D70064 1D923944
	s_add_u32 s60, 0x100, s80                                  // 000000004414: 803C50FF 00000100
	s_cmp_lt_u32 s60, s81                                      // 00000000441C: BF0A513C
	s_cselect_b32 s83, s83, 0                                  // 000000004420: 85538053
	v_mfma_i32_16x16x32_i8 v[100:103], a[70:71], a[30:31], v[100:103]// 000000004424: D3D70064 1D923D46
	s_add_u32 s24, s58, s24                                    // 00000000442C: 8018183A
	s_addc_u32 s25, 0, s25                                     // 000000004430: 82191980
	v_mfma_i32_16x16x32_i8 v[116:119], a[72:73], a[24:25], v[116:119]// 000000004434: D3D70074 1DD23148
	s_add_u32 s20, s57, s20                                    // 00000000443C: 80141439
	s_addc_u32 s21, 0, s21                                     // 000000004440: 82151580
	v_mfma_i32_16x16x32_i8 v[116:119], a[74:75], a[26:27], v[116:119]// 000000004444: D3D70074 1DD2354A
	s_add_u32 s84, s83, s84                                    // 00000000444C: 80545453
	s_addc_u32 s85, 0, s85                                     // 000000004450: 82555580
	v_mfma_i32_16x16x32_i8 v[116:119], a[76:77], a[28:29], v[116:119]// 000000004454: D3D70074 1DD2394C
	v_mfma_i32_16x16x32_i8 v[116:119], a[78:79], a[30:31], v[116:119]// 00000000445C: D3D70074 1DD23D4E
	s_addk_i32 s80, 0x80                                       // 000000004464: B7500080
	s_cmp_lt_i32 s80, s81                                      // 000000004468: BF045150
	s_cbranch_scc0 label_0774                                  // 00000000446C: BF8400D8
	s_waitcnt vmcnt(12) lgkmcnt(0)                             // 000000004470: BF8C007C
	v_mfma_i32_16x16x32_i8 v[56:59], a[80:81], a[32:33], v[56:59]// 000000004474: D3D70038 1CE24150
	v_mfma_i32_16x16x32_i8 v[56:59], a[82:83], a[34:35], v[56:59]// 00000000447C: D3D70038 1CE24552
	buffer_load_dwordx4 a[64:67], v54, s[24:27], 0 offen       // 000000004484: E05C1000 80864036
	v_mfma_i32_16x16x32_i8 v[56:59], a[84:85], a[36:37], v[56:59]// 00000000448C: D3D70038 1CE24954
	v_mfma_i32_16x16x32_i8 v[56:59], a[86:87], a[38:39], v[56:59]// 000000004494: D3D70038 1CE24D56
	v_mfma_i32_16x16x32_i8 v[72:75], a[88:89], a[32:33], v[72:75]// 00000000449C: D3D70048 1D224158
	v_mfma_i32_16x16x32_i8 v[72:75], a[90:91], a[34:35], v[72:75]// 0000000044A4: D3D70048 1D22455A
	buffer_load_dwordx4 a[68:71], v54, s[24:27], 0 offen offset:1024// 0000000044AC: E05C1400 80864436
	v_mfma_i32_16x16x32_i8 v[72:75], a[92:93], a[36:37], v[72:75]// 0000000044B4: D3D70048 1D22495C
	v_mfma_i32_16x16x32_i8 v[72:75], a[94:95], a[38:39], v[72:75]// 0000000044BC: D3D70048 1D224D5E
	v_mfma_i32_16x16x32_i8 v[60:63], a[80:81], a[40:41], v[60:63]// 0000000044C4: D3D7003C 1CF25150
	v_mfma_i32_16x16x32_i8 v[60:63], a[82:83], a[42:43], v[60:63]// 0000000044CC: D3D7003C 1CF25552
	buffer_load_dwordx4 a[72:75], v55, s[24:27], 0 offen       // 0000000044D4: E05C1000 80864837
	v_mfma_i32_16x16x32_i8 v[60:63], a[84:85], a[44:45], v[60:63]// 0000000044DC: D3D7003C 1CF25954
	v_mfma_i32_16x16x32_i8 v[60:63], a[86:87], a[46:47], v[60:63]// 0000000044E4: D3D7003C 1CF25D56
	v_mfma_i32_16x16x32_i8 v[76:79], a[88:89], a[40:41], v[76:79]// 0000000044EC: D3D7004C 1D325158
	v_mfma_i32_16x16x32_i8 v[76:79], a[90:91], a[42:43], v[76:79]// 0000000044F4: D3D7004C 1D32555A
	buffer_load_dwordx4 a[76:79], v55, s[24:27], 0 offen offset:1024// 0000000044FC: E05C1400 80864C37
	buffer_load_dword v46, s[20:23], 0 offen lds               // 000000004504: E0511000 8005002E
	s_add_u32 m0, 0x100, s49                                   // 00000000450C: 807C31FF 00000100
	v_mfma_i32_16x16x32_i8 v[76:79], a[92:93], a[44:45], v[76:79]// 000000004514: D3D7004C 1D32595C
	v_mfma_i32_16x16x32_i8 v[76:79], a[94:95], a[46:47], v[76:79]// 00000000451C: D3D7004C 1D325D5E
	buffer_load_dword v47, s[20:23], 0 offen lds               // 000000004524: E0511000 8005002F
	s_add_u32 m0, 0x200, s49                                   // 00000000452C: 807C31FF 00000200
	v_mfma_i32_16x16x32_i8 v[64:67], a[80:81], a[48:49], v[64:67]// 000000004534: D3D70040 1D026150
	v_mfma_i32_16x16x32_i8 v[64:67], a[82:83], a[50:51], v[64:67]// 00000000453C: D3D70040 1D026552
	buffer_load_dword v48, s[20:23], 0 offen lds               // 000000004544: E0511000 80050030
	s_add_u32 m0, 0x300, s49                                   // 00000000454C: 807C31FF 00000300
	v_mfma_i32_16x16x32_i8 v[64:67], a[84:85], a[52:53], v[64:67]// 000000004554: D3D70040 1D026954
	v_mfma_i32_16x16x32_i8 v[64:67], a[86:87], a[54:55], v[64:67]// 00000000455C: D3D70040 1D026D56
	buffer_load_dword v49, s[20:23], 0 offen lds               // 000000004564: E0511000 80050031
	s_add_u32 m0, 0x400, s49                                   // 00000000456C: 807C31FF 00000400
	v_mfma_i32_16x16x32_i8 v[80:83], a[88:89], a[48:49], v[80:83]// 000000004574: D3D70050 1D426158
	v_mfma_i32_16x16x32_i8 v[80:83], a[90:91], a[50:51], v[80:83]// 00000000457C: D3D70050 1D42655A
	buffer_load_dword v50, s[20:23], 0 offen lds               // 000000004584: E0511000 80050032
	s_add_u32 m0, 0x500, s49                                   // 00000000458C: 807C31FF 00000500
	v_mfma_i32_16x16x32_i8 v[80:83], a[92:93], a[52:53], v[80:83]// 000000004594: D3D70050 1D42695C
	v_mfma_i32_16x16x32_i8 v[80:83], a[94:95], a[54:55], v[80:83]// 00000000459C: D3D70050 1D426D5E
	buffer_load_dword v51, s[20:23], 0 offen lds               // 0000000045A4: E0511000 80050033
	s_add_u32 m0, 0x600, s49                                   // 0000000045AC: 807C31FF 00000600
	v_mfma_i32_16x16x32_i8 v[68:71], a[80:81], a[56:57], v[68:71]// 0000000045B4: D3D70044 1D127150
	v_mfma_i32_16x16x32_i8 v[68:71], a[82:83], a[58:59], v[68:71]// 0000000045BC: D3D70044 1D127552
	buffer_load_dword v52, s[20:23], 0 offen lds               // 0000000045C4: E0511000 80050034
	s_add_u32 m0, 0x700, s49                                   // 0000000045CC: 807C31FF 00000700
	v_mfma_i32_16x16x32_i8 v[68:71], a[84:85], a[60:61], v[68:71]// 0000000045D4: D3D70044 1D127954
	v_mfma_i32_16x16x32_i8 v[68:71], a[86:87], a[62:63], v[68:71]// 0000000045DC: D3D70044 1D127D56
	buffer_load_dword v53, s[20:23], 0 offen lds               // 0000000045E4: E0511000 80050035
	s_add_u32 m0, 0, s50                                       // 0000000045EC: 807C3280
	v_mfma_i32_16x16x32_i8 v[84:87], a[88:89], a[56:57], v[84:87]// 0000000045F0: D3D70054 1D527158
	v_mfma_i32_16x16x32_i8 v[84:87], a[90:91], a[58:59], v[84:87]// 0000000045F8: D3D70054 1D52755A
	v_mfma_i32_16x16x32_i8 v[84:87], a[92:93], a[60:61], v[84:87]// 000000004600: D3D70054 1D52795C
	v_mfma_i32_16x16x32_i8 v[84:87], a[94:95], a[62:63], v[84:87]// 000000004608: D3D70054 1D527D5E
	s_waitcnt vmcnt(12)                                        // 000000004610: BF8C0F7C
	s_barrier                                                  // 000000004614: BF8A0000
	v_mfma_i32_16x16x32_i8 v[88:91], a[96:97], a[32:33], v[88:91]// 000000004618: D3D70058 1D624160
	v_mfma_i32_16x16x32_i8 v[88:91], a[98:99], a[34:35], v[88:91]// 000000004620: D3D70058 1D624562
	buffer_load_dwordx4 a[80:83], v54, s[84:87], 0 offen       // 000000004628: E05C1000 80955036
	v_mfma_i32_16x16x32_i8 v[88:91], a[100:101], a[36:37], v[88:91]// 000000004630: D3D70058 1D624964
	v_mfma_i32_16x16x32_i8 v[88:91], a[102:103], a[38:39], v[88:91]// 000000004638: D3D70058 1D624D66
	ds_read_b128 a[0:3], v2                                    // 000000004640: DBFE0000 00000002
	ds_read_b128 a[4:7], v2 offset:64                          // 000000004648: DBFE0040 04000002
	v_mfma_i32_16x16x32_i8 v[104:107], a[104:105], a[32:33], v[104:107]// 000000004650: D3D70068 1DA24168
	v_mfma_i32_16x16x32_i8 v[104:107], a[106:107], a[34:35], v[104:107]// 000000004658: D3D70068 1DA2456A
	buffer_load_dwordx4 a[84:87], v54, s[84:87], 0 offen offset:1024// 000000004660: E05C1400 80955436
	v_mfma_i32_16x16x32_i8 v[104:107], a[108:109], a[36:37], v[104:107]// 000000004668: D3D70068 1DA2496C
	v_mfma_i32_16x16x32_i8 v[104:107], a[110:111], a[38:39], v[104:107]// 000000004670: D3D70068 1DA24D6E
	ds_read_b128 a[8:11], v2 offset:512                        // 000000004678: DBFE0200 08000002
	ds_read_b128 a[12:15], v2 offset:576                       // 000000004680: DBFE0240 0C000002
	v_mfma_i32_16x16x32_i8 v[92:95], a[96:97], a[40:41], v[92:95]// 000000004688: D3D7005C 1D725160
	v_mfma_i32_16x16x32_i8 v[92:95], a[98:99], a[42:43], v[92:95]// 000000004690: D3D7005C 1D725562
	buffer_load_dwordx4 a[88:91], v55, s[84:87], 0 offen       // 000000004698: E05C1000 80955837
	v_mfma_i32_16x16x32_i8 v[92:95], a[100:101], a[44:45], v[92:95]// 0000000046A0: D3D7005C 1D725964
	v_mfma_i32_16x16x32_i8 v[92:95], a[102:103], a[46:47], v[92:95]// 0000000046A8: D3D7005C 1D725D66
	ds_read_b128 a[16:19], v2 offset:1024                      // 0000000046B0: DBFE0400 10000002
	ds_read_b128 a[20:23], v2 offset:1088                      // 0000000046B8: DBFE0440 14000002
	v_mfma_i32_16x16x32_i8 v[108:111], a[104:105], a[40:41], v[108:111]// 0000000046C0: D3D7006C 1DB25168
	v_mfma_i32_16x16x32_i8 v[108:111], a[106:107], a[42:43], v[108:111]// 0000000046C8: D3D7006C 1DB2556A
	buffer_load_dwordx4 a[92:95], v55, s[84:87], 0 offen offset:1024// 0000000046D0: E05C1400 80955C37
	v_mfma_i32_16x16x32_i8 v[108:111], a[108:109], a[44:45], v[108:111]// 0000000046D8: D3D7006C 1DB2596C
	v_mfma_i32_16x16x32_i8 v[108:111], a[110:111], a[46:47], v[108:111]// 0000000046E0: D3D7006C 1DB25D6E
	ds_read_b128 a[24:27], v2 offset:1536                      // 0000000046E8: DBFE0600 18000002
	ds_read_b128 a[28:31], v2 offset:1600                      // 0000000046F0: DBFE0640 1C000002
	v_mfma_i32_16x16x32_i8 v[96:99], a[96:97], a[48:49], v[96:99]// 0000000046F8: D3D70060 1D826160
	v_mfma_i32_16x16x32_i8 v[96:99], a[98:99], a[50:51], v[96:99]// 000000004700: D3D70060 1D826562
	v_mfma_i32_16x16x32_i8 v[96:99], a[100:101], a[52:53], v[96:99]// 000000004708: D3D70060 1D826964
	v_mfma_i32_16x16x32_i8 v[96:99], a[102:103], a[54:55], v[96:99]// 000000004710: D3D70060 1D826D66
	v_mfma_i32_16x16x32_i8 v[112:115], a[104:105], a[48:49], v[112:115]// 000000004718: D3D70070 1DC26168
	v_mfma_i32_16x16x32_i8 v[112:115], a[106:107], a[50:51], v[112:115]// 000000004720: D3D70070 1DC2656A
	v_mfma_i32_16x16x32_i8 v[112:115], a[108:109], a[52:53], v[112:115]// 000000004728: D3D70070 1DC2696C
	v_mfma_i32_16x16x32_i8 v[112:115], a[110:111], a[54:55], v[112:115]// 000000004730: D3D70070 1DC26D6E
	v_mfma_i32_16x16x32_i8 v[100:103], a[96:97], a[56:57], v[100:103]// 000000004738: D3D70064 1D927160
	s_add_u32 s60, 0x180, s80                                  // 000000004740: 803C50FF 00000180
	s_cmp_lt_u32 s60, s81                                      // 000000004748: BF0A513C
	s_cselect_b32 s57, s57, 0                                  // 00000000474C: 85398039
	v_mfma_i32_16x16x32_i8 v[100:103], a[98:99], a[58:59], v[100:103]// 000000004750: D3D70064 1D927562
	s_add_u32 s60, 0x100, s80                                  // 000000004758: 803C50FF 00000100
	s_cmp_lt_u32 s60, s81                                      // 000000004760: BF0A513C
	s_cselect_b32 s58, s58, 0                                  // 000000004764: 853A803A
	v_mfma_i32_16x16x32_i8 v[100:103], a[100:101], a[60:61], v[100:103]// 000000004768: D3D70064 1D927964
	s_add_u32 s60, 0x100, s80                                  // 000000004770: 803C50FF 00000100
	s_cmp_lt_u32 s60, s81                                      // 000000004778: BF0A513C
	s_cselect_b32 s83, s83, 0                                  // 00000000477C: 85538053
	v_mfma_i32_16x16x32_i8 v[100:103], a[102:103], a[62:63], v[100:103]// 000000004780: D3D70064 1D927D66
	s_add_u32 s24, s58, s24                                    // 000000004788: 8018183A
	s_addc_u32 s25, 0, s25                                     // 00000000478C: 82191980
	v_mfma_i32_16x16x32_i8 v[116:119], a[104:105], a[56:57], v[116:119]// 000000004790: D3D70074 1DD27168
	s_add_u32 s20, s57, s20                                    // 000000004798: 80141439
	s_addc_u32 s21, 0, s21                                     // 00000000479C: 82151580
	v_mfma_i32_16x16x32_i8 v[116:119], a[106:107], a[58:59], v[116:119]// 0000000047A0: D3D70074 1DD2756A
	s_add_u32 s84, s83, s84                                    // 0000000047A8: 80545453
	s_addc_u32 s85, 0, s85                                     // 0000000047AC: 82555580
	v_mfma_i32_16x16x32_i8 v[116:119], a[108:109], a[60:61], v[116:119]// 0000000047B0: D3D70074 1DD2796C
	v_mfma_i32_16x16x32_i8 v[116:119], a[110:111], a[62:63], v[116:119]// 0000000047B8: D3D70074 1DD27D6E
	s_addk_i32 s80, 0x80                                       // 0000000047C0: B7500080
	s_cmp_lt_i32 s80, s81                                      // 0000000047C4: BF045150
	s_cbranch_scc0 label_0774                                  // 0000000047C8: BF840001
	s_branch label_0269                                        // 0000000047CC: BF82FAF5

00000000000047d0 <label_0774>:
	v_cvt_f32_i32_e32 v56, v56                                 // 0000000047D0: 7E700B38
	v_cvt_f32_i32_e32 v57, v57                                 // 0000000047D4: 7E720B39
	v_cvt_f32_i32_e32 v58, v58                                 // 0000000047D8: 7E740B3A
	v_cvt_f32_i32_e32 v59, v59                                 // 0000000047DC: 7E760B3B
	v_mul_f32_dpp v56, v24, v56 row_newbcast:0 row_mask:0xf bank_mask:0xf// 0000000047E0: 0A7070FA FF015018
	v_mul_f32_dpp v57, v24, v57 row_newbcast:1 row_mask:0xf bank_mask:0xf// 0000000047E8: 0A7272FA FF015118
	v_mul_f32_dpp v58, v24, v58 row_newbcast:2 row_mask:0xf bank_mask:0xf// 0000000047F0: 0A7474FA FF015218
	v_mul_f32_dpp v59, v24, v59 row_newbcast:3 row_mask:0xf bank_mask:0xf// 0000000047F8: 0A7676FA FF015318
	v_cvt_f32_i32_e32 v60, v60                                 // 000000004800: 7E780B3C
	v_cvt_f32_i32_e32 v61, v61                                 // 000000004804: 7E7A0B3D
	v_cvt_f32_i32_e32 v62, v62                                 // 000000004808: 7E7C0B3E
	v_cvt_f32_i32_e32 v63, v63                                 // 00000000480C: 7E7E0B3F
	v_mul_f32_dpp v60, v24, v60 row_newbcast:0 row_mask:0xf bank_mask:0xf// 000000004810: 0A7878FA FF015018
	v_mul_f32_dpp v61, v24, v61 row_newbcast:1 row_mask:0xf bank_mask:0xf// 000000004818: 0A7A7AFA FF015118
	v_mul_f32_dpp v62, v24, v62 row_newbcast:2 row_mask:0xf bank_mask:0xf// 000000004820: 0A7C7CFA FF015218
	v_mul_f32_dpp v63, v24, v63 row_newbcast:3 row_mask:0xf bank_mask:0xf// 000000004828: 0A7E7EFA FF015318
	v_cvt_f32_i32_e32 v64, v64                                 // 000000004830: 7E800B40
	v_cvt_f32_i32_e32 v65, v65                                 // 000000004834: 7E820B41
	v_cvt_f32_i32_e32 v66, v66                                 // 000000004838: 7E840B42
	v_cvt_f32_i32_e32 v67, v67                                 // 00000000483C: 7E860B43
	v_mul_f32_dpp v64, v24, v64 row_newbcast:0 row_mask:0xf bank_mask:0xf// 000000004840: 0A8080FA FF015018
	v_mul_f32_dpp v65, v24, v65 row_newbcast:1 row_mask:0xf bank_mask:0xf// 000000004848: 0A8282FA FF015118
	v_mul_f32_dpp v66, v24, v66 row_newbcast:2 row_mask:0xf bank_mask:0xf// 000000004850: 0A8484FA FF015218
	v_mul_f32_dpp v67, v24, v67 row_newbcast:3 row_mask:0xf bank_mask:0xf// 000000004858: 0A8686FA FF015318
	v_cvt_f32_i32_e32 v68, v68                                 // 000000004860: 7E880B44
	v_cvt_f32_i32_e32 v69, v69                                 // 000000004864: 7E8A0B45
	v_cvt_f32_i32_e32 v70, v70                                 // 000000004868: 7E8C0B46
	v_cvt_f32_i32_e32 v71, v71                                 // 00000000486C: 7E8E0B47
	v_mul_f32_dpp v68, v24, v68 row_newbcast:0 row_mask:0xf bank_mask:0xf// 000000004870: 0A8888FA FF015018
	v_mul_f32_dpp v69, v24, v69 row_newbcast:1 row_mask:0xf bank_mask:0xf// 000000004878: 0A8A8AFA FF015118
	v_mul_f32_dpp v70, v24, v70 row_newbcast:2 row_mask:0xf bank_mask:0xf// 000000004880: 0A8C8CFA FF015218
	v_mul_f32_dpp v71, v24, v71 row_newbcast:3 row_mask:0xf bank_mask:0xf// 000000004888: 0A8E8EFA FF015318
	v_cvt_f32_i32_e32 v72, v72                                 // 000000004890: 7E900B48
	v_cvt_f32_i32_e32 v73, v73                                 // 000000004894: 7E920B49
	v_cvt_f32_i32_e32 v74, v74                                 // 000000004898: 7E940B4A
	v_cvt_f32_i32_e32 v75, v75                                 // 00000000489C: 7E960B4B
	v_mul_f32_dpp v72, v24, v72 row_newbcast:4 row_mask:0xf bank_mask:0xf// 0000000048A0: 0A9090FA FF015418
	v_mul_f32_dpp v73, v24, v73 row_newbcast:5 row_mask:0xf bank_mask:0xf// 0000000048A8: 0A9292FA FF015518
	v_mul_f32_dpp v74, v24, v74 row_newbcast:6 row_mask:0xf bank_mask:0xf// 0000000048B0: 0A9494FA FF015618
	v_mul_f32_dpp v75, v24, v75 row_newbcast:7 row_mask:0xf bank_mask:0xf// 0000000048B8: 0A9696FA FF015718
	v_cvt_f32_i32_e32 v76, v76                                 // 0000000048C0: 7E980B4C
	v_cvt_f32_i32_e32 v77, v77                                 // 0000000048C4: 7E9A0B4D
	v_cvt_f32_i32_e32 v78, v78                                 // 0000000048C8: 7E9C0B4E
	v_cvt_f32_i32_e32 v79, v79                                 // 0000000048CC: 7E9E0B4F
	v_mul_f32_dpp v76, v24, v76 row_newbcast:4 row_mask:0xf bank_mask:0xf// 0000000048D0: 0A9898FA FF015418
	v_mul_f32_dpp v77, v24, v77 row_newbcast:5 row_mask:0xf bank_mask:0xf// 0000000048D8: 0A9A9AFA FF015518
	v_mul_f32_dpp v78, v24, v78 row_newbcast:6 row_mask:0xf bank_mask:0xf// 0000000048E0: 0A9C9CFA FF015618
	v_mul_f32_dpp v79, v24, v79 row_newbcast:7 row_mask:0xf bank_mask:0xf// 0000000048E8: 0A9E9EFA FF015718
	v_cvt_f32_i32_e32 v80, v80                                 // 0000000048F0: 7EA00B50
	v_cvt_f32_i32_e32 v81, v81                                 // 0000000048F4: 7EA20B51
	v_cvt_f32_i32_e32 v82, v82                                 // 0000000048F8: 7EA40B52
	v_cvt_f32_i32_e32 v83, v83                                 // 0000000048FC: 7EA60B53
	v_mul_f32_dpp v80, v24, v80 row_newbcast:4 row_mask:0xf bank_mask:0xf// 000000004900: 0AA0A0FA FF015418
	v_mul_f32_dpp v81, v24, v81 row_newbcast:5 row_mask:0xf bank_mask:0xf// 000000004908: 0AA2A2FA FF015518
	v_mul_f32_dpp v82, v24, v82 row_newbcast:6 row_mask:0xf bank_mask:0xf// 000000004910: 0AA4A4FA FF015618
	v_mul_f32_dpp v83, v24, v83 row_newbcast:7 row_mask:0xf bank_mask:0xf// 000000004918: 0AA6A6FA FF015718
	v_cvt_f32_i32_e32 v84, v84                                 // 000000004920: 7EA80B54
	v_cvt_f32_i32_e32 v85, v85                                 // 000000004924: 7EAA0B55
	v_cvt_f32_i32_e32 v86, v86                                 // 000000004928: 7EAC0B56
	v_cvt_f32_i32_e32 v87, v87                                 // 00000000492C: 7EAE0B57
	v_mul_f32_dpp v84, v24, v84 row_newbcast:4 row_mask:0xf bank_mask:0xf// 000000004930: 0AA8A8FA FF015418
	v_mul_f32_dpp v85, v24, v85 row_newbcast:5 row_mask:0xf bank_mask:0xf// 000000004938: 0AAAAAFA FF015518
	v_mul_f32_dpp v86, v24, v86 row_newbcast:6 row_mask:0xf bank_mask:0xf// 000000004940: 0AACACFA FF015618
	v_mul_f32_dpp v87, v24, v87 row_newbcast:7 row_mask:0xf bank_mask:0xf// 000000004948: 0AAEAEFA FF015718
	v_cvt_f32_i32_e32 v88, v88                                 // 000000004950: 7EB00B58
	v_cvt_f32_i32_e32 v89, v89                                 // 000000004954: 7EB20B59
	v_cvt_f32_i32_e32 v90, v90                                 // 000000004958: 7EB40B5A
	v_cvt_f32_i32_e32 v91, v91                                 // 00000000495C: 7EB60B5B
	v_mul_f32_dpp v88, v27, v88 row_newbcast:0 row_mask:0xf bank_mask:0xf// 000000004960: 0AB0B0FA FF01501B
	v_mul_f32_dpp v89, v27, v89 row_newbcast:1 row_mask:0xf bank_mask:0xf// 000000004968: 0AB2B2FA FF01511B
	v_mul_f32_dpp v90, v27, v90 row_newbcast:2 row_mask:0xf bank_mask:0xf// 000000004970: 0AB4B4FA FF01521B
	v_mul_f32_dpp v91, v27, v91 row_newbcast:3 row_mask:0xf bank_mask:0xf// 000000004978: 0AB6B6FA FF01531B
	v_cvt_f32_i32_e32 v92, v92                                 // 000000004980: 7EB80B5C
	v_cvt_f32_i32_e32 v93, v93                                 // 000000004984: 7EBA0B5D
	v_cvt_f32_i32_e32 v94, v94                                 // 000000004988: 7EBC0B5E
	v_cvt_f32_i32_e32 v95, v95                                 // 00000000498C: 7EBE0B5F
	v_mul_f32_dpp v92, v27, v92 row_newbcast:0 row_mask:0xf bank_mask:0xf// 000000004990: 0AB8B8FA FF01501B
	v_mul_f32_dpp v93, v27, v93 row_newbcast:1 row_mask:0xf bank_mask:0xf// 000000004998: 0ABABAFA FF01511B
	v_mul_f32_dpp v94, v27, v94 row_newbcast:2 row_mask:0xf bank_mask:0xf// 0000000049A0: 0ABCBCFA FF01521B
	v_mul_f32_dpp v95, v27, v95 row_newbcast:3 row_mask:0xf bank_mask:0xf// 0000000049A8: 0ABEBEFA FF01531B
	v_cvt_f32_i32_e32 v96, v96                                 // 0000000049B0: 7EC00B60
	v_cvt_f32_i32_e32 v97, v97                                 // 0000000049B4: 7EC20B61
	v_cvt_f32_i32_e32 v98, v98                                 // 0000000049B8: 7EC40B62
	v_cvt_f32_i32_e32 v99, v99                                 // 0000000049BC: 7EC60B63
	v_mul_f32_dpp v96, v27, v96 row_newbcast:0 row_mask:0xf bank_mask:0xf// 0000000049C0: 0AC0C0FA FF01501B
	v_mul_f32_dpp v97, v27, v97 row_newbcast:1 row_mask:0xf bank_mask:0xf// 0000000049C8: 0AC2C2FA FF01511B
	v_mul_f32_dpp v98, v27, v98 row_newbcast:2 row_mask:0xf bank_mask:0xf// 0000000049D0: 0AC4C4FA FF01521B
	v_mul_f32_dpp v99, v27, v99 row_newbcast:3 row_mask:0xf bank_mask:0xf// 0000000049D8: 0AC6C6FA FF01531B
	v_cvt_f32_i32_e32 v100, v100                               // 0000000049E0: 7EC80B64
	v_cvt_f32_i32_e32 v101, v101                               // 0000000049E4: 7ECA0B65
	v_cvt_f32_i32_e32 v102, v102                               // 0000000049E8: 7ECC0B66
	v_cvt_f32_i32_e32 v103, v103                               // 0000000049EC: 7ECE0B67
	v_mul_f32_dpp v100, v27, v100 row_newbcast:0 row_mask:0xf bank_mask:0xf// 0000000049F0: 0AC8C8FA FF01501B
	v_mul_f32_dpp v101, v27, v101 row_newbcast:1 row_mask:0xf bank_mask:0xf// 0000000049F8: 0ACACAFA FF01511B
	v_mul_f32_dpp v102, v27, v102 row_newbcast:2 row_mask:0xf bank_mask:0xf// 000000004A00: 0ACCCCFA FF01521B
	v_mul_f32_dpp v103, v27, v103 row_newbcast:3 row_mask:0xf bank_mask:0xf// 000000004A08: 0ACECEFA FF01531B
	v_cvt_f32_i32_e32 v104, v104                               // 000000004A10: 7ED00B68
	v_cvt_f32_i32_e32 v105, v105                               // 000000004A14: 7ED20B69
	v_cvt_f32_i32_e32 v106, v106                               // 000000004A18: 7ED40B6A
	v_cvt_f32_i32_e32 v107, v107                               // 000000004A1C: 7ED60B6B
	v_mul_f32_dpp v104, v27, v104 row_newbcast:4 row_mask:0xf bank_mask:0xf// 000000004A20: 0AD0D0FA FF01541B
	v_mul_f32_dpp v105, v27, v105 row_newbcast:5 row_mask:0xf bank_mask:0xf// 000000004A28: 0AD2D2FA FF01551B
	v_mul_f32_dpp v106, v27, v106 row_newbcast:6 row_mask:0xf bank_mask:0xf// 000000004A30: 0AD4D4FA FF01561B
	v_mul_f32_dpp v107, v27, v107 row_newbcast:7 row_mask:0xf bank_mask:0xf// 000000004A38: 0AD6D6FA FF01571B
	v_cvt_f32_i32_e32 v108, v108                               // 000000004A40: 7ED80B6C
	v_cvt_f32_i32_e32 v109, v109                               // 000000004A44: 7EDA0B6D
	v_cvt_f32_i32_e32 v110, v110                               // 000000004A48: 7EDC0B6E
	v_cvt_f32_i32_e32 v111, v111                               // 000000004A4C: 7EDE0B6F
	v_mul_f32_dpp v108, v27, v108 row_newbcast:4 row_mask:0xf bank_mask:0xf// 000000004A50: 0AD8D8FA FF01541B
	v_mul_f32_dpp v109, v27, v109 row_newbcast:5 row_mask:0xf bank_mask:0xf// 000000004A58: 0ADADAFA FF01551B
	v_mul_f32_dpp v110, v27, v110 row_newbcast:6 row_mask:0xf bank_mask:0xf// 000000004A60: 0ADCDCFA FF01561B
	v_mul_f32_dpp v111, v27, v111 row_newbcast:7 row_mask:0xf bank_mask:0xf// 000000004A68: 0ADEDEFA FF01571B
	v_cvt_f32_i32_e32 v112, v112                               // 000000004A70: 7EE00B70
	v_cvt_f32_i32_e32 v113, v113                               // 000000004A74: 7EE20B71
	v_cvt_f32_i32_e32 v114, v114                               // 000000004A78: 7EE40B72
	v_cvt_f32_i32_e32 v115, v115                               // 000000004A7C: 7EE60B73
	v_mul_f32_dpp v112, v27, v112 row_newbcast:4 row_mask:0xf bank_mask:0xf// 000000004A80: 0AE0E0FA FF01541B
	v_mul_f32_dpp v113, v27, v113 row_newbcast:5 row_mask:0xf bank_mask:0xf// 000000004A88: 0AE2E2FA FF01551B
	v_mul_f32_dpp v114, v27, v114 row_newbcast:6 row_mask:0xf bank_mask:0xf// 000000004A90: 0AE4E4FA FF01561B
	v_mul_f32_dpp v115, v27, v115 row_newbcast:7 row_mask:0xf bank_mask:0xf// 000000004A98: 0AE6E6FA FF01571B
	v_cvt_f32_i32_e32 v116, v116                               // 000000004AA0: 7EE80B74
	v_cvt_f32_i32_e32 v117, v117                               // 000000004AA4: 7EEA0B75
	v_cvt_f32_i32_e32 v118, v118                               // 000000004AA8: 7EEC0B76
	v_cvt_f32_i32_e32 v119, v119                               // 000000004AAC: 7EEE0B77
	v_mul_f32_dpp v116, v27, v116 row_newbcast:4 row_mask:0xf bank_mask:0xf// 000000004AB0: 0AE8E8FA FF01541B
	v_mul_f32_dpp v117, v27, v117 row_newbcast:5 row_mask:0xf bank_mask:0xf// 000000004AB8: 0AEAEAFA FF01551B
	v_mul_f32_dpp v118, v27, v118 row_newbcast:6 row_mask:0xf bank_mask:0xf// 000000004AC0: 0AECECFA FF01561B
	v_mul_f32_dpp v119, v27, v119 row_newbcast:7 row_mask:0xf bank_mask:0xf// 000000004AC8: 0AEEEEFA FF01571B
	v_mov_b32_e32 v4, v34                                      // 000000004AD0: 7E080322
	v_mov_b32_e32 v5, v4                                       // 000000004AD4: 7E0A0304
	v_pk_mul_f32 v[56:57], v[4:5], v[56:57]                    // 000000004AD8: D3B14038 18027104
	v_pk_mul_f32 v[88:89], v[4:5], v[88:89]                    // 000000004AE0: D3B14058 1802B104
	v_pk_mul_f32 v[58:59], v[4:5], v[58:59]                    // 000000004AE8: D3B1403A 18027504
	v_pk_mul_f32 v[90:91], v[4:5], v[90:91]                    // 000000004AF0: D3B1405A 1802B504
	v_pk_mul_f32 v[72:73], v[4:5], v[72:73]                    // 000000004AF8: D3B14048 18029104
	v_pk_mul_f32 v[104:105], v[4:5], v[104:105]                // 000000004B00: D3B14068 1802D104
	v_pk_mul_f32 v[74:75], v[4:5], v[74:75]                    // 000000004B08: D3B1404A 18029504
	v_pk_mul_f32 v[106:107], v[4:5], v[106:107]                // 000000004B10: D3B1406A 1802D504
	v_mov_b32_e32 v4, v35                                      // 000000004B18: 7E080323
	v_mov_b32_e32 v5, v4                                       // 000000004B1C: 7E0A0304
	v_pk_mul_f32 v[60:61], v[4:5], v[60:61]                    // 000000004B20: D3B1403C 18027904
	v_pk_mul_f32 v[92:93], v[4:5], v[92:93]                    // 000000004B28: D3B1405C 1802B904
	v_pk_mul_f32 v[62:63], v[4:5], v[62:63]                    // 000000004B30: D3B1403E 18027D04
	v_pk_mul_f32 v[94:95], v[4:5], v[94:95]                    // 000000004B38: D3B1405E 1802BD04
	v_pk_mul_f32 v[76:77], v[4:5], v[76:77]                    // 000000004B40: D3B1404C 18029904
	v_pk_mul_f32 v[108:109], v[4:5], v[108:109]                // 000000004B48: D3B1406C 1802D904
	v_pk_mul_f32 v[78:79], v[4:5], v[78:79]                    // 000000004B50: D3B1404E 18029D04
	v_pk_mul_f32 v[110:111], v[4:5], v[110:111]                // 000000004B58: D3B1406E 1802DD04
	v_mov_b32_e32 v4, v36                                      // 000000004B60: 7E080324
	v_mov_b32_e32 v5, v4                                       // 000000004B64: 7E0A0304
	v_pk_mul_f32 v[64:65], v[4:5], v[64:65]                    // 000000004B68: D3B14040 18028104
	v_pk_mul_f32 v[96:97], v[4:5], v[96:97]                    // 000000004B70: D3B14060 1802C104
	v_pk_mul_f32 v[66:67], v[4:5], v[66:67]                    // 000000004B78: D3B14042 18028504
	v_pk_mul_f32 v[98:99], v[4:5], v[98:99]                    // 000000004B80: D3B14062 1802C504
	v_pk_mul_f32 v[80:81], v[4:5], v[80:81]                    // 000000004B88: D3B14050 1802A104
	v_pk_mul_f32 v[112:113], v[4:5], v[112:113]                // 000000004B90: D3B14070 1802E104
	v_pk_mul_f32 v[82:83], v[4:5], v[82:83]                    // 000000004B98: D3B14052 1802A504
	v_pk_mul_f32 v[114:115], v[4:5], v[114:115]                // 000000004BA0: D3B14072 1802E504
	v_mov_b32_e32 v4, v37                                      // 000000004BA8: 7E080325
	v_mov_b32_e32 v5, v4                                       // 000000004BAC: 7E0A0304
	v_pk_mul_f32 v[68:69], v[4:5], v[68:69]                    // 000000004BB0: D3B14044 18028904
	v_pk_mul_f32 v[100:101], v[4:5], v[100:101]                // 000000004BB8: D3B14064 1802C904
	v_pk_mul_f32 v[70:71], v[4:5], v[70:71]                    // 000000004BC0: D3B14046 18028D04
	v_pk_mul_f32 v[102:103], v[4:5], v[102:103]                // 000000004BC8: D3B14066 1802CD04
	v_pk_mul_f32 v[84:85], v[4:5], v[84:85]                    // 000000004BD0: D3B14054 1802A904
	v_pk_mul_f32 v[116:117], v[4:5], v[116:117]                // 000000004BD8: D3B14074 1802E904
	v_pk_mul_f32 v[86:87], v[4:5], v[86:87]                    // 000000004BE0: D3B14056 1802AD04
	v_pk_mul_f32 v[118:119], v[4:5], v[118:119]                // 000000004BE8: D3B14076 1802ED04
	s_cmp_eq_u32 s88, 0                                        // 000000004BF0: BF068058
	s_cbranch_scc0 label_0D3F                                  // 000000004BF4: BF8404C1
	s_cmp_eq_u32 s89, 0                                        // 000000004BF8: BF068059
	s_cbranch_scc1 label_09C5                                  // 000000004BFC: BF850145
	v_mov_b32_e32 v8, v1                                       // 000000004C00: 7E100301
	v_mov_b32_e32 v9, v1                                       // 000000004C04: 7E120301
	s_mov_b32 s60, s6                                          // 000000004C08: BEBC0006
	s_mov_b32 s61, s6                                          // 000000004C0C: BEBD0006
	v_pk_mul_f32 v[4:5], v[56:57], v[56:57]                    // 000000004C10: D3B14004 18027138
	v_pk_mul_f32 v[6:7], v[58:59], v[58:59]                    // 000000004C18: D3B14006 1802753A
	v_pk_fma_f32 v[4:5], v[4:5], s[78:79], v[8:9]              // 000000004C20: D3B04004 1C209D04
	v_pk_fma_f32 v[6:7], v[6:7], s[78:79], v[8:9]              // 000000004C28: D3B04006 1C209D06
	v_pk_mul_f32 v[4:5], v[4:5], v[56:57]                      // 000000004C30: D3B14004 18027104
	v_pk_mul_f32 v[6:7], v[6:7], v[58:59]                      // 000000004C38: D3B14006 18027506
	v_pk_mul_f32 v[4:5], v[4:5], s[60:61]                      // 000000004C40: D3B14004 18007904
	v_pk_mul_f32 v[6:7], v[6:7], s[60:61]                      // 000000004C48: D3B14006 18007906
	v_exp_f32_e32 v4, v4                                       // 000000004C50: 7E084104
	v_exp_f32_e32 v5, v5                                       // 000000004C54: 7E0A4105
	v_exp_f32_e32 v6, v6                                       // 000000004C58: 7E0C4106
	v_exp_f32_e32 v7, v7                                       // 000000004C5C: 7E0E4107
	v_add_f32_e64 v4, v4, 1.0                                  // 000000004C60: D1010004 0001E504
	v_add_f32_e64 v5, v5, 1.0                                  // 000000004C68: D1010005 0001E505
	v_add_f32_e64 v6, v6, 1.0                                  // 000000004C70: D1010006 0001E506
	v_add_f32_e64 v7, v7, 1.0                                  // 000000004C78: D1010007 0001E507
	v_rcp_f32_e32 v4, v4                                       // 000000004C80: 7E084504
	v_rcp_f32_e32 v5, v5                                       // 000000004C84: 7E0A4505
	v_rcp_f32_e32 v6, v6                                       // 000000004C88: 7E0C4506
	v_rcp_f32_e32 v7, v7                                       // 000000004C8C: 7E0E4507
	v_mul_f32_e32 v56, v56, v4                                 // 000000004C90: 0A700938
	v_mul_f32_e32 v57, v57, v5                                 // 000000004C94: 0A720B39
	v_mul_f32_e32 v58, v58, v6                                 // 000000004C98: 0A740D3A
	v_mul_f32_e32 v59, v59, v7                                 // 000000004C9C: 0A760F3B
	v_mul_f32_e32 v56, v56, v88                                // 000000004CA0: 0A70B138
	v_mul_f32_e32 v57, v57, v89                                // 000000004CA4: 0A72B339
	v_mul_f32_e32 v58, v58, v90                                // 000000004CA8: 0A74B53A
	v_mul_f32_e32 v59, v59, v91                                // 000000004CAC: 0A76B73B
	v_pk_mul_f32 v[4:5], v[60:61], v[60:61]                    // 000000004CB0: D3B14004 1802793C
	v_pk_mul_f32 v[6:7], v[62:63], v[62:63]                    // 000000004CB8: D3B14006 18027D3E
	v_pk_fma_f32 v[4:5], v[4:5], s[78:79], v[8:9]              // 000000004CC0: D3B04004 1C209D04
	v_pk_fma_f32 v[6:7], v[6:7], s[78:79], v[8:9]              // 000000004CC8: D3B04006 1C209D06
	v_pk_mul_f32 v[4:5], v[4:5], v[60:61]                      // 000000004CD0: D3B14004 18027904
	v_pk_mul_f32 v[6:7], v[6:7], v[62:63]                      // 000000004CD8: D3B14006 18027D06
	v_pk_mul_f32 v[4:5], v[4:5], s[60:61]                      // 000000004CE0: D3B14004 18007904
	v_pk_mul_f32 v[6:7], v[6:7], s[60:61]                      // 000000004CE8: D3B14006 18007906
	v_exp_f32_e32 v4, v4                                       // 000000004CF0: 7E084104
	v_exp_f32_e32 v5, v5                                       // 000000004CF4: 7E0A4105
	v_exp_f32_e32 v6, v6                                       // 000000004CF8: 7E0C4106
	v_exp_f32_e32 v7, v7                                       // 000000004CFC: 7E0E4107
	v_add_f32_e64 v4, v4, 1.0                                  // 000000004D00: D1010004 0001E504
	v_add_f32_e64 v5, v5, 1.0                                  // 000000004D08: D1010005 0001E505
	v_add_f32_e64 v6, v6, 1.0                                  // 000000004D10: D1010006 0001E506
	v_add_f32_e64 v7, v7, 1.0                                  // 000000004D18: D1010007 0001E507
	v_rcp_f32_e32 v4, v4                                       // 000000004D20: 7E084504
	v_rcp_f32_e32 v5, v5                                       // 000000004D24: 7E0A4505
	v_rcp_f32_e32 v6, v6                                       // 000000004D28: 7E0C4506
	v_rcp_f32_e32 v7, v7                                       // 000000004D2C: 7E0E4507
	v_mul_f32_e32 v60, v60, v4                                 // 000000004D30: 0A78093C
	v_mul_f32_e32 v61, v61, v5                                 // 000000004D34: 0A7A0B3D
	v_mul_f32_e32 v62, v62, v6                                 // 000000004D38: 0A7C0D3E
	v_mul_f32_e32 v63, v63, v7                                 // 000000004D3C: 0A7E0F3F
	v_mul_f32_e32 v60, v60, v92                                // 000000004D40: 0A78B93C
	v_mul_f32_e32 v61, v61, v93                                // 000000004D44: 0A7ABB3D
	v_mul_f32_e32 v62, v62, v94                                // 000000004D48: 0A7CBD3E
	v_mul_f32_e32 v63, v63, v95                                // 000000004D4C: 0A7EBF3F
	v_pk_mul_f32 v[4:5], v[64:65], v[64:65]                    // 000000004D50: D3B14004 18028140
	v_pk_mul_f32 v[6:7], v[66:67], v[66:67]                    // 000000004D58: D3B14006 18028542
	v_pk_fma_f32 v[4:5], v[4:5], s[78:79], v[8:9]              // 000000004D60: D3B04004 1C209D04
	v_pk_fma_f32 v[6:7], v[6:7], s[78:79], v[8:9]              // 000000004D68: D3B04006 1C209D06
	v_pk_mul_f32 v[4:5], v[4:5], v[64:65]                      // 000000004D70: D3B14004 18028104
	v_pk_mul_f32 v[6:7], v[6:7], v[66:67]                      // 000000004D78: D3B14006 18028506
	v_pk_mul_f32 v[4:5], v[4:5], s[60:61]                      // 000000004D80: D3B14004 18007904
	v_pk_mul_f32 v[6:7], v[6:7], s[60:61]                      // 000000004D88: D3B14006 18007906
	v_exp_f32_e32 v4, v4                                       // 000000004D90: 7E084104
	v_exp_f32_e32 v5, v5                                       // 000000004D94: 7E0A4105
	v_exp_f32_e32 v6, v6                                       // 000000004D98: 7E0C4106
	v_exp_f32_e32 v7, v7                                       // 000000004D9C: 7E0E4107
	v_add_f32_e64 v4, v4, 1.0                                  // 000000004DA0: D1010004 0001E504
	v_add_f32_e64 v5, v5, 1.0                                  // 000000004DA8: D1010005 0001E505
	v_add_f32_e64 v6, v6, 1.0                                  // 000000004DB0: D1010006 0001E506
	v_add_f32_e64 v7, v7, 1.0                                  // 000000004DB8: D1010007 0001E507
	v_rcp_f32_e32 v4, v4                                       // 000000004DC0: 7E084504
	v_rcp_f32_e32 v5, v5                                       // 000000004DC4: 7E0A4505
	v_rcp_f32_e32 v6, v6                                       // 000000004DC8: 7E0C4506
	v_rcp_f32_e32 v7, v7                                       // 000000004DCC: 7E0E4507
	v_mul_f32_e32 v64, v64, v4                                 // 000000004DD0: 0A800940
	v_mul_f32_e32 v65, v65, v5                                 // 000000004DD4: 0A820B41
	v_mul_f32_e32 v66, v66, v6                                 // 000000004DD8: 0A840D42
	v_mul_f32_e32 v67, v67, v7                                 // 000000004DDC: 0A860F43
	v_mul_f32_e32 v64, v64, v96                                // 000000004DE0: 0A80C140
	v_mul_f32_e32 v65, v65, v97                                // 000000004DE4: 0A82C341
	v_mul_f32_e32 v66, v66, v98                                // 000000004DE8: 0A84C542
	v_mul_f32_e32 v67, v67, v99                                // 000000004DEC: 0A86C743
	v_pk_mul_f32 v[4:5], v[68:69], v[68:69]                    // 000000004DF0: D3B14004 18028944
	v_pk_mul_f32 v[6:7], v[70:71], v[70:71]                    // 000000004DF8: D3B14006 18028D46
	v_pk_fma_f32 v[4:5], v[4:5], s[78:79], v[8:9]              // 000000004E00: D3B04004 1C209D04
	v_pk_fma_f32 v[6:7], v[6:7], s[78:79], v[8:9]              // 000000004E08: D3B04006 1C209D06
	v_pk_mul_f32 v[4:5], v[4:5], v[68:69]                      // 000000004E10: D3B14004 18028904
	v_pk_mul_f32 v[6:7], v[6:7], v[70:71]                      // 000000004E18: D3B14006 18028D06
	v_pk_mul_f32 v[4:5], v[4:5], s[60:61]                      // 000000004E20: D3B14004 18007904
	v_pk_mul_f32 v[6:7], v[6:7], s[60:61]                      // 000000004E28: D3B14006 18007906
	v_exp_f32_e32 v4, v4                                       // 000000004E30: 7E084104
	v_exp_f32_e32 v5, v5                                       // 000000004E34: 7E0A4105
	v_exp_f32_e32 v6, v6                                       // 000000004E38: 7E0C4106
	v_exp_f32_e32 v7, v7                                       // 000000004E3C: 7E0E4107
	v_add_f32_e64 v4, v4, 1.0                                  // 000000004E40: D1010004 0001E504
	v_add_f32_e64 v5, v5, 1.0                                  // 000000004E48: D1010005 0001E505
	v_add_f32_e64 v6, v6, 1.0                                  // 000000004E50: D1010006 0001E506
	v_add_f32_e64 v7, v7, 1.0                                  // 000000004E58: D1010007 0001E507
	v_rcp_f32_e32 v4, v4                                       // 000000004E60: 7E084504
	v_rcp_f32_e32 v5, v5                                       // 000000004E64: 7E0A4505
	v_rcp_f32_e32 v6, v6                                       // 000000004E68: 7E0C4506
	v_rcp_f32_e32 v7, v7                                       // 000000004E6C: 7E0E4507
	v_mul_f32_e32 v68, v68, v4                                 // 000000004E70: 0A880944
	v_mul_f32_e32 v69, v69, v5                                 // 000000004E74: 0A8A0B45
	v_mul_f32_e32 v70, v70, v6                                 // 000000004E78: 0A8C0D46
	v_mul_f32_e32 v71, v71, v7                                 // 000000004E7C: 0A8E0F47
	v_mul_f32_e32 v68, v68, v100                               // 000000004E80: 0A88C944
	v_mul_f32_e32 v69, v69, v101                               // 000000004E84: 0A8ACB45
	v_mul_f32_e32 v70, v70, v102                               // 000000004E88: 0A8CCD46
	v_mul_f32_e32 v71, v71, v103                               // 000000004E8C: 0A8ECF47
	v_pk_mul_f32 v[4:5], v[72:73], v[72:73]                    // 000000004E90: D3B14004 18029148
	v_pk_mul_f32 v[6:7], v[74:75], v[74:75]                    // 000000004E98: D3B14006 1802954A
	v_pk_fma_f32 v[4:5], v[4:5], s[78:79], v[8:9]              // 000000004EA0: D3B04004 1C209D04
	v_pk_fma_f32 v[6:7], v[6:7], s[78:79], v[8:9]              // 000000004EA8: D3B04006 1C209D06
	v_pk_mul_f32 v[4:5], v[4:5], v[72:73]                      // 000000004EB0: D3B14004 18029104
	v_pk_mul_f32 v[6:7], v[6:7], v[74:75]                      // 000000004EB8: D3B14006 18029506
	v_pk_mul_f32 v[4:5], v[4:5], s[60:61]                      // 000000004EC0: D3B14004 18007904
	v_pk_mul_f32 v[6:7], v[6:7], s[60:61]                      // 000000004EC8: D3B14006 18007906
	v_exp_f32_e32 v4, v4                                       // 000000004ED0: 7E084104
	v_exp_f32_e32 v5, v5                                       // 000000004ED4: 7E0A4105
	v_exp_f32_e32 v6, v6                                       // 000000004ED8: 7E0C4106
	v_exp_f32_e32 v7, v7                                       // 000000004EDC: 7E0E4107
	v_add_f32_e64 v4, v4, 1.0                                  // 000000004EE0: D1010004 0001E504
	v_add_f32_e64 v5, v5, 1.0                                  // 000000004EE8: D1010005 0001E505
	v_add_f32_e64 v6, v6, 1.0                                  // 000000004EF0: D1010006 0001E506
	v_add_f32_e64 v7, v7, 1.0                                  // 000000004EF8: D1010007 0001E507
	v_rcp_f32_e32 v4, v4                                       // 000000004F00: 7E084504
	v_rcp_f32_e32 v5, v5                                       // 000000004F04: 7E0A4505
	v_rcp_f32_e32 v6, v6                                       // 000000004F08: 7E0C4506
	v_rcp_f32_e32 v7, v7                                       // 000000004F0C: 7E0E4507
	v_mul_f32_e32 v72, v72, v4                                 // 000000004F10: 0A900948
	v_mul_f32_e32 v73, v73, v5                                 // 000000004F14: 0A920B49
	v_mul_f32_e32 v74, v74, v6                                 // 000000004F18: 0A940D4A
	v_mul_f32_e32 v75, v75, v7                                 // 000000004F1C: 0A960F4B
	v_mul_f32_e32 v72, v72, v104                               // 000000004F20: 0A90D148
	v_mul_f32_e32 v73, v73, v105                               // 000000004F24: 0A92D349
	v_mul_f32_e32 v74, v74, v106                               // 000000004F28: 0A94D54A
	v_mul_f32_e32 v75, v75, v107                               // 000000004F2C: 0A96D74B
	v_pk_mul_f32 v[4:5], v[76:77], v[76:77]                    // 000000004F30: D3B14004 1802994C
	v_pk_mul_f32 v[6:7], v[78:79], v[78:79]                    // 000000004F38: D3B14006 18029D4E
	v_pk_fma_f32 v[4:5], v[4:5], s[78:79], v[8:9]              // 000000004F40: D3B04004 1C209D04
	v_pk_fma_f32 v[6:7], v[6:7], s[78:79], v[8:9]              // 000000004F48: D3B04006 1C209D06
	v_pk_mul_f32 v[4:5], v[4:5], v[76:77]                      // 000000004F50: D3B14004 18029904
	v_pk_mul_f32 v[6:7], v[6:7], v[78:79]                      // 000000004F58: D3B14006 18029D06
	v_pk_mul_f32 v[4:5], v[4:5], s[60:61]                      // 000000004F60: D3B14004 18007904
	v_pk_mul_f32 v[6:7], v[6:7], s[60:61]                      // 000000004F68: D3B14006 18007906
	v_exp_f32_e32 v4, v4                                       // 000000004F70: 7E084104
	v_exp_f32_e32 v5, v5                                       // 000000004F74: 7E0A4105
	v_exp_f32_e32 v6, v6                                       // 000000004F78: 7E0C4106
	v_exp_f32_e32 v7, v7                                       // 000000004F7C: 7E0E4107
	v_add_f32_e64 v4, v4, 1.0                                  // 000000004F80: D1010004 0001E504
	v_add_f32_e64 v5, v5, 1.0                                  // 000000004F88: D1010005 0001E505
	v_add_f32_e64 v6, v6, 1.0                                  // 000000004F90: D1010006 0001E506
	v_add_f32_e64 v7, v7, 1.0                                  // 000000004F98: D1010007 0001E507
	v_rcp_f32_e32 v4, v4                                       // 000000004FA0: 7E084504
	v_rcp_f32_e32 v5, v5                                       // 000000004FA4: 7E0A4505
	v_rcp_f32_e32 v6, v6                                       // 000000004FA8: 7E0C4506
	v_rcp_f32_e32 v7, v7                                       // 000000004FAC: 7E0E4507
	v_mul_f32_e32 v76, v76, v4                                 // 000000004FB0: 0A98094C
	v_mul_f32_e32 v77, v77, v5                                 // 000000004FB4: 0A9A0B4D
	v_mul_f32_e32 v78, v78, v6                                 // 000000004FB8: 0A9C0D4E
	v_mul_f32_e32 v79, v79, v7                                 // 000000004FBC: 0A9E0F4F
	v_mul_f32_e32 v76, v76, v108                               // 000000004FC0: 0A98D94C
	v_mul_f32_e32 v77, v77, v109                               // 000000004FC4: 0A9ADB4D
	v_mul_f32_e32 v78, v78, v110                               // 000000004FC8: 0A9CDD4E
	v_mul_f32_e32 v79, v79, v111                               // 000000004FCC: 0A9EDF4F
	v_pk_mul_f32 v[4:5], v[80:81], v[80:81]                    // 000000004FD0: D3B14004 1802A150
	v_pk_mul_f32 v[6:7], v[82:83], v[82:83]                    // 000000004FD8: D3B14006 1802A552
	v_pk_fma_f32 v[4:5], v[4:5], s[78:79], v[8:9]              // 000000004FE0: D3B04004 1C209D04
	v_pk_fma_f32 v[6:7], v[6:7], s[78:79], v[8:9]              // 000000004FE8: D3B04006 1C209D06
	v_pk_mul_f32 v[4:5], v[4:5], v[80:81]                      // 000000004FF0: D3B14004 1802A104
	v_pk_mul_f32 v[6:7], v[6:7], v[82:83]                      // 000000004FF8: D3B14006 1802A506
	v_pk_mul_f32 v[4:5], v[4:5], s[60:61]                      // 000000005000: D3B14004 18007904
	v_pk_mul_f32 v[6:7], v[6:7], s[60:61]                      // 000000005008: D3B14006 18007906
	v_exp_f32_e32 v4, v4                                       // 000000005010: 7E084104
	v_exp_f32_e32 v5, v5                                       // 000000005014: 7E0A4105
	v_exp_f32_e32 v6, v6                                       // 000000005018: 7E0C4106
	v_exp_f32_e32 v7, v7                                       // 00000000501C: 7E0E4107
	v_add_f32_e64 v4, v4, 1.0                                  // 000000005020: D1010004 0001E504
	v_add_f32_e64 v5, v5, 1.0                                  // 000000005028: D1010005 0001E505
	v_add_f32_e64 v6, v6, 1.0                                  // 000000005030: D1010006 0001E506
	v_add_f32_e64 v7, v7, 1.0                                  // 000000005038: D1010007 0001E507
	v_rcp_f32_e32 v4, v4                                       // 000000005040: 7E084504
	v_rcp_f32_e32 v5, v5                                       // 000000005044: 7E0A4505
	v_rcp_f32_e32 v6, v6                                       // 000000005048: 7E0C4506
	v_rcp_f32_e32 v7, v7                                       // 00000000504C: 7E0E4507
	v_mul_f32_e32 v80, v80, v4                                 // 000000005050: 0AA00950
	v_mul_f32_e32 v81, v81, v5                                 // 000000005054: 0AA20B51
	v_mul_f32_e32 v82, v82, v6                                 // 000000005058: 0AA40D52
	v_mul_f32_e32 v83, v83, v7                                 // 00000000505C: 0AA60F53
	v_mul_f32_e32 v80, v80, v112                               // 000000005060: 0AA0E150
	v_mul_f32_e32 v81, v81, v113                               // 000000005064: 0AA2E351
	v_mul_f32_e32 v82, v82, v114                               // 000000005068: 0AA4E552
	v_mul_f32_e32 v83, v83, v115                               // 00000000506C: 0AA6E753
	v_pk_mul_f32 v[4:5], v[84:85], v[84:85]                    // 000000005070: D3B14004 1802A954
	v_pk_mul_f32 v[6:7], v[86:87], v[86:87]                    // 000000005078: D3B14006 1802AD56
	v_pk_fma_f32 v[4:5], v[4:5], s[78:79], v[8:9]              // 000000005080: D3B04004 1C209D04
	v_pk_fma_f32 v[6:7], v[6:7], s[78:79], v[8:9]              // 000000005088: D3B04006 1C209D06
	v_pk_mul_f32 v[4:5], v[4:5], v[84:85]                      // 000000005090: D3B14004 1802A904
	v_pk_mul_f32 v[6:7], v[6:7], v[86:87]                      // 000000005098: D3B14006 1802AD06
	v_pk_mul_f32 v[4:5], v[4:5], s[60:61]                      // 0000000050A0: D3B14004 18007904
	v_pk_mul_f32 v[6:7], v[6:7], s[60:61]                      // 0000000050A8: D3B14006 18007906
	v_exp_f32_e32 v4, v4                                       // 0000000050B0: 7E084104
	v_exp_f32_e32 v5, v5                                       // 0000000050B4: 7E0A4105
	v_exp_f32_e32 v6, v6                                       // 0000000050B8: 7E0C4106
	v_exp_f32_e32 v7, v7                                       // 0000000050BC: 7E0E4107
	v_add_f32_e64 v4, v4, 1.0                                  // 0000000050C0: D1010004 0001E504
	v_add_f32_e64 v5, v5, 1.0                                  // 0000000050C8: D1010005 0001E505
	v_add_f32_e64 v6, v6, 1.0                                  // 0000000050D0: D1010006 0001E506
	v_add_f32_e64 v7, v7, 1.0                                  // 0000000050D8: D1010007 0001E507
	v_rcp_f32_e32 v4, v4                                       // 0000000050E0: 7E084504
	v_rcp_f32_e32 v5, v5                                       // 0000000050E4: 7E0A4505
	v_rcp_f32_e32 v6, v6                                       // 0000000050E8: 7E0C4506
	v_rcp_f32_e32 v7, v7                                       // 0000000050EC: 7E0E4507
	v_mul_f32_e32 v84, v84, v4                                 // 0000000050F0: 0AA80954
	v_mul_f32_e32 v85, v85, v5                                 // 0000000050F4: 0AAA0B55
	v_mul_f32_e32 v86, v86, v6                                 // 0000000050F8: 0AAC0D56
	v_mul_f32_e32 v87, v87, v7                                 // 0000000050FC: 0AAE0F57
	v_mul_f32_e32 v84, v84, v116                               // 000000005100: 0AA8E954
	v_mul_f32_e32 v85, v85, v117                               // 000000005104: 0AAAEB55
	v_mul_f32_e32 v86, v86, v118                               // 000000005108: 0AACED56
	v_mul_f32_e32 v87, v87, v119                               // 00000000510C: 0AAEEF57
	s_branch label_0AC5                                        // 000000005110: BF820100

0000000000005114 <label_09C5>:
	v_mul_f32_e64 v4, -v56, s6                                 // 000000005114: D1050004 20000D38
	v_mul_f32_e64 v5, -v57, s6                                 // 00000000511C: D1050005 20000D39
	v_mul_f32_e64 v6, -v58, s6                                 // 000000005124: D1050006 20000D3A
	v_mul_f32_e64 v7, -v59, s6                                 // 00000000512C: D1050007 20000D3B
	v_exp_f32_e32 v4, v4                                       // 000000005134: 7E084104
	v_exp_f32_e32 v5, v5                                       // 000000005138: 7E0A4105
	v_exp_f32_e32 v6, v6                                       // 00000000513C: 7E0C4106
	v_exp_f32_e32 v7, v7                                       // 000000005140: 7E0E4107
	v_add_f32_e64 v4, v4, 1.0                                  // 000000005144: D1010004 0001E504
	v_add_f32_e64 v5, v5, 1.0                                  // 00000000514C: D1010005 0001E505
	v_add_f32_e64 v6, v6, 1.0                                  // 000000005154: D1010006 0001E506
	v_add_f32_e64 v7, v7, 1.0                                  // 00000000515C: D1010007 0001E507
	v_rcp_f32_e32 v4, v4                                       // 000000005164: 7E084504
	v_rcp_f32_e32 v5, v5                                       // 000000005168: 7E0A4505
	v_rcp_f32_e32 v6, v6                                       // 00000000516C: 7E0C4506
	v_rcp_f32_e32 v7, v7                                       // 000000005170: 7E0E4507
	v_mul_f32_e32 v56, v56, v4                                 // 000000005174: 0A700938
	v_mul_f32_e32 v57, v57, v5                                 // 000000005178: 0A720B39
	v_mul_f32_e32 v58, v58, v6                                 // 00000000517C: 0A740D3A
	v_mul_f32_e32 v59, v59, v7                                 // 000000005180: 0A760F3B
	v_mul_f32_e32 v56, v56, v88                                // 000000005184: 0A70B138
	v_mul_f32_e32 v57, v57, v89                                // 000000005188: 0A72B339
	v_mul_f32_e32 v58, v58, v90                                // 00000000518C: 0A74B53A
	v_mul_f32_e32 v59, v59, v91                                // 000000005190: 0A76B73B
	v_mul_f32_e64 v4, -v60, s6                                 // 000000005194: D1050004 20000D3C
	v_mul_f32_e64 v5, -v61, s6                                 // 00000000519C: D1050005 20000D3D
	v_mul_f32_e64 v6, -v62, s6                                 // 0000000051A4: D1050006 20000D3E
	v_mul_f32_e64 v7, -v63, s6                                 // 0000000051AC: D1050007 20000D3F
	v_exp_f32_e32 v4, v4                                       // 0000000051B4: 7E084104
	v_exp_f32_e32 v5, v5                                       // 0000000051B8: 7E0A4105
	v_exp_f32_e32 v6, v6                                       // 0000000051BC: 7E0C4106
	v_exp_f32_e32 v7, v7                                       // 0000000051C0: 7E0E4107
	v_add_f32_e64 v4, v4, 1.0                                  // 0000000051C4: D1010004 0001E504
	v_add_f32_e64 v5, v5, 1.0                                  // 0000000051CC: D1010005 0001E505
	v_add_f32_e64 v6, v6, 1.0                                  // 0000000051D4: D1010006 0001E506
	v_add_f32_e64 v7, v7, 1.0                                  // 0000000051DC: D1010007 0001E507
	v_rcp_f32_e32 v4, v4                                       // 0000000051E4: 7E084504
	v_rcp_f32_e32 v5, v5                                       // 0000000051E8: 7E0A4505
	v_rcp_f32_e32 v6, v6                                       // 0000000051EC: 7E0C4506
	v_rcp_f32_e32 v7, v7                                       // 0000000051F0: 7E0E4507
	v_mul_f32_e32 v60, v60, v4                                 // 0000000051F4: 0A78093C
	v_mul_f32_e32 v61, v61, v5                                 // 0000000051F8: 0A7A0B3D
	v_mul_f32_e32 v62, v62, v6                                 // 0000000051FC: 0A7C0D3E
	v_mul_f32_e32 v63, v63, v7                                 // 000000005200: 0A7E0F3F
	v_mul_f32_e32 v60, v60, v92                                // 000000005204: 0A78B93C
	v_mul_f32_e32 v61, v61, v93                                // 000000005208: 0A7ABB3D
	v_mul_f32_e32 v62, v62, v94                                // 00000000520C: 0A7CBD3E
	v_mul_f32_e32 v63, v63, v95                                // 000000005210: 0A7EBF3F
	v_mul_f32_e64 v4, -v64, s6                                 // 000000005214: D1050004 20000D40
	v_mul_f32_e64 v5, -v65, s6                                 // 00000000521C: D1050005 20000D41
	v_mul_f32_e64 v6, -v66, s6                                 // 000000005224: D1050006 20000D42
	v_mul_f32_e64 v7, -v67, s6                                 // 00000000522C: D1050007 20000D43
	v_exp_f32_e32 v4, v4                                       // 000000005234: 7E084104
	v_exp_f32_e32 v5, v5                                       // 000000005238: 7E0A4105
	v_exp_f32_e32 v6, v6                                       // 00000000523C: 7E0C4106
	v_exp_f32_e32 v7, v7                                       // 000000005240: 7E0E4107
	v_add_f32_e64 v4, v4, 1.0                                  // 000000005244: D1010004 0001E504
	v_add_f32_e64 v5, v5, 1.0                                  // 00000000524C: D1010005 0001E505
	v_add_f32_e64 v6, v6, 1.0                                  // 000000005254: D1010006 0001E506
	v_add_f32_e64 v7, v7, 1.0                                  // 00000000525C: D1010007 0001E507
	v_rcp_f32_e32 v4, v4                                       // 000000005264: 7E084504
	v_rcp_f32_e32 v5, v5                                       // 000000005268: 7E0A4505
	v_rcp_f32_e32 v6, v6                                       // 00000000526C: 7E0C4506
	v_rcp_f32_e32 v7, v7                                       // 000000005270: 7E0E4507
	v_mul_f32_e32 v64, v64, v4                                 // 000000005274: 0A800940
	v_mul_f32_e32 v65, v65, v5                                 // 000000005278: 0A820B41
	v_mul_f32_e32 v66, v66, v6                                 // 00000000527C: 0A840D42
	v_mul_f32_e32 v67, v67, v7                                 // 000000005280: 0A860F43
	v_mul_f32_e32 v64, v64, v96                                // 000000005284: 0A80C140
	v_mul_f32_e32 v65, v65, v97                                // 000000005288: 0A82C341
	v_mul_f32_e32 v66, v66, v98                                // 00000000528C: 0A84C542
	v_mul_f32_e32 v67, v67, v99                                // 000000005290: 0A86C743
	v_mul_f32_e64 v4, -v68, s6                                 // 000000005294: D1050004 20000D44
	v_mul_f32_e64 v5, -v69, s6                                 // 00000000529C: D1050005 20000D45
	v_mul_f32_e64 v6, -v70, s6                                 // 0000000052A4: D1050006 20000D46
	v_mul_f32_e64 v7, -v71, s6                                 // 0000000052AC: D1050007 20000D47
	v_exp_f32_e32 v4, v4                                       // 0000000052B4: 7E084104
	v_exp_f32_e32 v5, v5                                       // 0000000052B8: 7E0A4105
	v_exp_f32_e32 v6, v6                                       // 0000000052BC: 7E0C4106
	v_exp_f32_e32 v7, v7                                       // 0000000052C0: 7E0E4107
	v_add_f32_e64 v4, v4, 1.0                                  // 0000000052C4: D1010004 0001E504
	v_add_f32_e64 v5, v5, 1.0                                  // 0000000052CC: D1010005 0001E505
	v_add_f32_e64 v6, v6, 1.0                                  // 0000000052D4: D1010006 0001E506
	v_add_f32_e64 v7, v7, 1.0                                  // 0000000052DC: D1010007 0001E507
	v_rcp_f32_e32 v4, v4                                       // 0000000052E4: 7E084504
	v_rcp_f32_e32 v5, v5                                       // 0000000052E8: 7E0A4505
	v_rcp_f32_e32 v6, v6                                       // 0000000052EC: 7E0C4506
	v_rcp_f32_e32 v7, v7                                       // 0000000052F0: 7E0E4507
	v_mul_f32_e32 v68, v68, v4                                 // 0000000052F4: 0A880944
	v_mul_f32_e32 v69, v69, v5                                 // 0000000052F8: 0A8A0B45
	v_mul_f32_e32 v70, v70, v6                                 // 0000000052FC: 0A8C0D46
	v_mul_f32_e32 v71, v71, v7                                 // 000000005300: 0A8E0F47
	v_mul_f32_e32 v68, v68, v100                               // 000000005304: 0A88C944
	v_mul_f32_e32 v69, v69, v101                               // 000000005308: 0A8ACB45
	v_mul_f32_e32 v70, v70, v102                               // 00000000530C: 0A8CCD46
	v_mul_f32_e32 v71, v71, v103                               // 000000005310: 0A8ECF47
	v_mul_f32_e64 v4, -v72, s6                                 // 000000005314: D1050004 20000D48
	v_mul_f32_e64 v5, -v73, s6                                 // 00000000531C: D1050005 20000D49
	v_mul_f32_e64 v6, -v74, s6                                 // 000000005324: D1050006 20000D4A
	v_mul_f32_e64 v7, -v75, s6                                 // 00000000532C: D1050007 20000D4B
	v_exp_f32_e32 v4, v4                                       // 000000005334: 7E084104
	v_exp_f32_e32 v5, v5                                       // 000000005338: 7E0A4105
	v_exp_f32_e32 v6, v6                                       // 00000000533C: 7E0C4106
	v_exp_f32_e32 v7, v7                                       // 000000005340: 7E0E4107
	v_add_f32_e64 v4, v4, 1.0                                  // 000000005344: D1010004 0001E504
	v_add_f32_e64 v5, v5, 1.0                                  // 00000000534C: D1010005 0001E505
	v_add_f32_e64 v6, v6, 1.0                                  // 000000005354: D1010006 0001E506
	v_add_f32_e64 v7, v7, 1.0                                  // 00000000535C: D1010007 0001E507
	v_rcp_f32_e32 v4, v4                                       // 000000005364: 7E084504
	v_rcp_f32_e32 v5, v5                                       // 000000005368: 7E0A4505
	v_rcp_f32_e32 v6, v6                                       // 00000000536C: 7E0C4506
	v_rcp_f32_e32 v7, v7                                       // 000000005370: 7E0E4507
	v_mul_f32_e32 v72, v72, v4                                 // 000000005374: 0A900948
	v_mul_f32_e32 v73, v73, v5                                 // 000000005378: 0A920B49
	v_mul_f32_e32 v74, v74, v6                                 // 00000000537C: 0A940D4A
	v_mul_f32_e32 v75, v75, v7                                 // 000000005380: 0A960F4B
	v_mul_f32_e32 v72, v72, v104                               // 000000005384: 0A90D148
	v_mul_f32_e32 v73, v73, v105                               // 000000005388: 0A92D349
	v_mul_f32_e32 v74, v74, v106                               // 00000000538C: 0A94D54A
	v_mul_f32_e32 v75, v75, v107                               // 000000005390: 0A96D74B
	v_mul_f32_e64 v4, -v76, s6                                 // 000000005394: D1050004 20000D4C
	v_mul_f32_e64 v5, -v77, s6                                 // 00000000539C: D1050005 20000D4D
	v_mul_f32_e64 v6, -v78, s6                                 // 0000000053A4: D1050006 20000D4E
	v_mul_f32_e64 v7, -v79, s6                                 // 0000000053AC: D1050007 20000D4F
	v_exp_f32_e32 v4, v4                                       // 0000000053B4: 7E084104
	v_exp_f32_e32 v5, v5                                       // 0000000053B8: 7E0A4105
	v_exp_f32_e32 v6, v6                                       // 0000000053BC: 7E0C4106
	v_exp_f32_e32 v7, v7                                       // 0000000053C0: 7E0E4107
	v_add_f32_e64 v4, v4, 1.0                                  // 0000000053C4: D1010004 0001E504
	v_add_f32_e64 v5, v5, 1.0                                  // 0000000053CC: D1010005 0001E505
	v_add_f32_e64 v6, v6, 1.0                                  // 0000000053D4: D1010006 0001E506
	v_add_f32_e64 v7, v7, 1.0                                  // 0000000053DC: D1010007 0001E507
	v_rcp_f32_e32 v4, v4                                       // 0000000053E4: 7E084504
	v_rcp_f32_e32 v5, v5                                       // 0000000053E8: 7E0A4505
	v_rcp_f32_e32 v6, v6                                       // 0000000053EC: 7E0C4506
	v_rcp_f32_e32 v7, v7                                       // 0000000053F0: 7E0E4507
	v_mul_f32_e32 v76, v76, v4                                 // 0000000053F4: 0A98094C
	v_mul_f32_e32 v77, v77, v5                                 // 0000000053F8: 0A9A0B4D
	v_mul_f32_e32 v78, v78, v6                                 // 0000000053FC: 0A9C0D4E
	v_mul_f32_e32 v79, v79, v7                                 // 000000005400: 0A9E0F4F
	v_mul_f32_e32 v76, v76, v108                               // 000000005404: 0A98D94C
	v_mul_f32_e32 v77, v77, v109                               // 000000005408: 0A9ADB4D
	v_mul_f32_e32 v78, v78, v110                               // 00000000540C: 0A9CDD4E
	v_mul_f32_e32 v79, v79, v111                               // 000000005410: 0A9EDF4F
	v_mul_f32_e64 v4, -v80, s6                                 // 000000005414: D1050004 20000D50
	v_mul_f32_e64 v5, -v81, s6                                 // 00000000541C: D1050005 20000D51
	v_mul_f32_e64 v6, -v82, s6                                 // 000000005424: D1050006 20000D52
	v_mul_f32_e64 v7, -v83, s6                                 // 00000000542C: D1050007 20000D53
	v_exp_f32_e32 v4, v4                                       // 000000005434: 7E084104
	v_exp_f32_e32 v5, v5                                       // 000000005438: 7E0A4105
	v_exp_f32_e32 v6, v6                                       // 00000000543C: 7E0C4106
	v_exp_f32_e32 v7, v7                                       // 000000005440: 7E0E4107
	v_add_f32_e64 v4, v4, 1.0                                  // 000000005444: D1010004 0001E504
	v_add_f32_e64 v5, v5, 1.0                                  // 00000000544C: D1010005 0001E505
	v_add_f32_e64 v6, v6, 1.0                                  // 000000005454: D1010006 0001E506
	v_add_f32_e64 v7, v7, 1.0                                  // 00000000545C: D1010007 0001E507
	v_rcp_f32_e32 v4, v4                                       // 000000005464: 7E084504
	v_rcp_f32_e32 v5, v5                                       // 000000005468: 7E0A4505
	v_rcp_f32_e32 v6, v6                                       // 00000000546C: 7E0C4506
	v_rcp_f32_e32 v7, v7                                       // 000000005470: 7E0E4507
	v_mul_f32_e32 v80, v80, v4                                 // 000000005474: 0AA00950
	v_mul_f32_e32 v81, v81, v5                                 // 000000005478: 0AA20B51
	v_mul_f32_e32 v82, v82, v6                                 // 00000000547C: 0AA40D52
	v_mul_f32_e32 v83, v83, v7                                 // 000000005480: 0AA60F53
	v_mul_f32_e32 v80, v80, v112                               // 000000005484: 0AA0E150
	v_mul_f32_e32 v81, v81, v113                               // 000000005488: 0AA2E351
	v_mul_f32_e32 v82, v82, v114                               // 00000000548C: 0AA4E552
	v_mul_f32_e32 v83, v83, v115                               // 000000005490: 0AA6E753
	v_mul_f32_e64 v4, -v84, s6                                 // 000000005494: D1050004 20000D54
	v_mul_f32_e64 v5, -v85, s6                                 // 00000000549C: D1050005 20000D55
	v_mul_f32_e64 v6, -v86, s6                                 // 0000000054A4: D1050006 20000D56
	v_mul_f32_e64 v7, -v87, s6                                 // 0000000054AC: D1050007 20000D57
	v_exp_f32_e32 v4, v4                                       // 0000000054B4: 7E084104
	v_exp_f32_e32 v5, v5                                       // 0000000054B8: 7E0A4105
	v_exp_f32_e32 v6, v6                                       // 0000000054BC: 7E0C4106
	v_exp_f32_e32 v7, v7                                       // 0000000054C0: 7E0E4107
	v_add_f32_e64 v4, v4, 1.0                                  // 0000000054C4: D1010004 0001E504
	v_add_f32_e64 v5, v5, 1.0                                  // 0000000054CC: D1010005 0001E505
	v_add_f32_e64 v6, v6, 1.0                                  // 0000000054D4: D1010006 0001E506
	v_add_f32_e64 v7, v7, 1.0                                  // 0000000054DC: D1010007 0001E507
	v_rcp_f32_e32 v4, v4                                       // 0000000054E4: 7E084504
	v_rcp_f32_e32 v5, v5                                       // 0000000054E8: 7E0A4505
	v_rcp_f32_e32 v6, v6                                       // 0000000054EC: 7E0C4506
	v_rcp_f32_e32 v7, v7                                       // 0000000054F0: 7E0E4507
	v_mul_f32_e32 v84, v84, v4                                 // 0000000054F4: 0AA80954
	v_mul_f32_e32 v85, v85, v5                                 // 0000000054F8: 0AAA0B55
	v_mul_f32_e32 v86, v86, v6                                 // 0000000054FC: 0AAC0D56
	v_mul_f32_e32 v87, v87, v7                                 // 000000005500: 0AAE0F57
	v_mul_f32_e32 v84, v84, v116                               // 000000005504: 0AA8E954
	v_mul_f32_e32 v85, v85, v117                               // 000000005508: 0AAAEB55
	v_mul_f32_e32 v86, v86, v118                               // 00000000550C: 0AACED56
	v_mul_f32_e32 v87, v87, v119                               // 000000005510: 0AAEEF57

0000000000005514 <label_0AC5>:
	v_cmp_u_f32_e64 s[46:47], v56, v56                         // 000000005514: D048002E 00027138
	v_add3_u32 v16, v56, v19, 1                                // 00000000551C: D1FF0010 02062738
	v_cndmask_b32_e64 v4, v16, v18, s[46:47]                   // 000000005524: D1000004 00BA2510
	v_cmp_u_f32_e64 s[46:47], v57, v57                         // 00000000552C: D048002E 00027339
	v_add3_u32 v16, v57, v19, 1                                // 000000005534: D1FF0010 02062739
	v_cndmask_b32_e64 v5, v16, v18, s[46:47]                   // 00000000553C: D1000005 00BA2510
	v_perm_b32 v56, v5, v4, s52                                // 000000005544: D1ED0038 00D20905
	v_cmp_u_f32_e64 s[46:47], v58, v58                         // 00000000554C: D048002E 0002753A
	v_add3_u32 v16, v58, v19, 1                                // 000000005554: D1FF0010 0206273A
	v_cndmask_b32_e64 v4, v16, v18, s[46:47]                   // 00000000555C: D1000004 00BA2510
	v_cmp_u_f32_e64 s[46:47], v59, v59                         // 000000005564: D048002E 0002773B
	v_add3_u32 v16, v59, v19, 1                                // 00000000556C: D1FF0010 0206273B
	v_cndmask_b32_e64 v5, v16, v18, s[46:47]                   // 000000005574: D1000005 00BA2510
	v_perm_b32 v57, v5, v4, s52                                // 00000000557C: D1ED0039 00D20905
	v_cmp_u_f32_e64 s[46:47], v60, v60                         // 000000005584: D048002E 0002793C
	v_add3_u32 v16, v60, v19, 1                                // 00000000558C: D1FF0010 0206273C
	v_cndmask_b32_e64 v4, v16, v18, s[46:47]                   // 000000005594: D1000004 00BA2510
	v_cmp_u_f32_e64 s[46:47], v61, v61                         // 00000000559C: D048002E 00027B3D
	v_add3_u32 v16, v61, v19, 1                                // 0000000055A4: D1FF0010 0206273D
	v_cndmask_b32_e64 v5, v16, v18, s[46:47]                   // 0000000055AC: D1000005 00BA2510
	v_perm_b32 v58, v5, v4, s52                                // 0000000055B4: D1ED003A 00D20905
	v_cmp_u_f32_e64 s[46:47], v62, v62                         // 0000000055BC: D048002E 00027D3E
	v_add3_u32 v16, v62, v19, 1                                // 0000000055C4: D1FF0010 0206273E
	v_cndmask_b32_e64 v4, v16, v18, s[46:47]                   // 0000000055CC: D1000004 00BA2510
	v_cmp_u_f32_e64 s[46:47], v63, v63                         // 0000000055D4: D048002E 00027F3F
	v_add3_u32 v16, v63, v19, 1                                // 0000000055DC: D1FF0010 0206273F
	v_cndmask_b32_e64 v5, v16, v18, s[46:47]                   // 0000000055E4: D1000005 00BA2510
	v_perm_b32 v59, v5, v4, s52                                // 0000000055EC: D1ED003B 00D20905
	v_cmp_u_f32_e64 s[46:47], v64, v64                         // 0000000055F4: D048002E 00028140
	v_add3_u32 v16, v64, v19, 1                                // 0000000055FC: D1FF0010 02062740
	v_cndmask_b32_e64 v4, v16, v18, s[46:47]                   // 000000005604: D1000004 00BA2510
	v_cmp_u_f32_e64 s[46:47], v65, v65                         // 00000000560C: D048002E 00028341
	v_add3_u32 v16, v65, v19, 1                                // 000000005614: D1FF0010 02062741
	v_cndmask_b32_e64 v5, v16, v18, s[46:47]                   // 00000000561C: D1000005 00BA2510
	v_perm_b32 v60, v5, v4, s52                                // 000000005624: D1ED003C 00D20905
	v_cmp_u_f32_e64 s[46:47], v66, v66                         // 00000000562C: D048002E 00028542
	v_add3_u32 v16, v66, v19, 1                                // 000000005634: D1FF0010 02062742
	v_cndmask_b32_e64 v4, v16, v18, s[46:47]                   // 00000000563C: D1000004 00BA2510
	v_cmp_u_f32_e64 s[46:47], v67, v67                         // 000000005644: D048002E 00028743
	v_add3_u32 v16, v67, v19, 1                                // 00000000564C: D1FF0010 02062743
	v_cndmask_b32_e64 v5, v16, v18, s[46:47]                   // 000000005654: D1000005 00BA2510
	v_perm_b32 v61, v5, v4, s52                                // 00000000565C: D1ED003D 00D20905
	v_cmp_u_f32_e64 s[46:47], v68, v68                         // 000000005664: D048002E 00028944
	v_add3_u32 v16, v68, v19, 1                                // 00000000566C: D1FF0010 02062744
	v_cndmask_b32_e64 v4, v16, v18, s[46:47]                   // 000000005674: D1000004 00BA2510
	v_cmp_u_f32_e64 s[46:47], v69, v69                         // 00000000567C: D048002E 00028B45
	v_add3_u32 v16, v69, v19, 1                                // 000000005684: D1FF0010 02062745
	v_cndmask_b32_e64 v5, v16, v18, s[46:47]                   // 00000000568C: D1000005 00BA2510
	v_perm_b32 v62, v5, v4, s52                                // 000000005694: D1ED003E 00D20905
	v_cmp_u_f32_e64 s[46:47], v70, v70                         // 00000000569C: D048002E 00028D46
	v_add3_u32 v16, v70, v19, 1                                // 0000000056A4: D1FF0010 02062746
	v_cndmask_b32_e64 v4, v16, v18, s[46:47]                   // 0000000056AC: D1000004 00BA2510
	v_cmp_u_f32_e64 s[46:47], v71, v71                         // 0000000056B4: D048002E 00028F47
	v_add3_u32 v16, v71, v19, 1                                // 0000000056BC: D1FF0010 02062747
	v_cndmask_b32_e64 v5, v16, v18, s[46:47]                   // 0000000056C4: D1000005 00BA2510
	v_perm_b32 v63, v5, v4, s52                                // 0000000056CC: D1ED003F 00D20905
	v_cmp_u_f32_e64 s[46:47], v72, v72                         // 0000000056D4: D048002E 00029148
	v_add3_u32 v16, v72, v19, 1                                // 0000000056DC: D1FF0010 02062748
	v_cndmask_b32_e64 v4, v16, v18, s[46:47]                   // 0000000056E4: D1000004 00BA2510
	v_cmp_u_f32_e64 s[46:47], v73, v73                         // 0000000056EC: D048002E 00029349
	v_add3_u32 v16, v73, v19, 1                                // 0000000056F4: D1FF0010 02062749
	v_cndmask_b32_e64 v5, v16, v18, s[46:47]                   // 0000000056FC: D1000005 00BA2510
	v_perm_b32 v64, v5, v4, s52                                // 000000005704: D1ED0040 00D20905
	v_cmp_u_f32_e64 s[46:47], v74, v74                         // 00000000570C: D048002E 0002954A
	v_add3_u32 v16, v74, v19, 1                                // 000000005714: D1FF0010 0206274A
	v_cndmask_b32_e64 v4, v16, v18, s[46:47]                   // 00000000571C: D1000004 00BA2510
	v_cmp_u_f32_e64 s[46:47], v75, v75                         // 000000005724: D048002E 0002974B
	v_add3_u32 v16, v75, v19, 1                                // 00000000572C: D1FF0010 0206274B
	v_cndmask_b32_e64 v5, v16, v18, s[46:47]                   // 000000005734: D1000005 00BA2510
	v_perm_b32 v65, v5, v4, s52                                // 00000000573C: D1ED0041 00D20905
	v_cmp_u_f32_e64 s[46:47], v76, v76                         // 000000005744: D048002E 0002994C
	v_add3_u32 v16, v76, v19, 1                                // 00000000574C: D1FF0010 0206274C
	v_cndmask_b32_e64 v4, v16, v18, s[46:47]                   // 000000005754: D1000004 00BA2510
	v_cmp_u_f32_e64 s[46:47], v77, v77                         // 00000000575C: D048002E 00029B4D
	v_add3_u32 v16, v77, v19, 1                                // 000000005764: D1FF0010 0206274D
	v_cndmask_b32_e64 v5, v16, v18, s[46:47]                   // 00000000576C: D1000005 00BA2510
	v_perm_b32 v66, v5, v4, s52                                // 000000005774: D1ED0042 00D20905
	v_cmp_u_f32_e64 s[46:47], v78, v78                         // 00000000577C: D048002E 00029D4E
	v_add3_u32 v16, v78, v19, 1                                // 000000005784: D1FF0010 0206274E
	v_cndmask_b32_e64 v4, v16, v18, s[46:47]                   // 00000000578C: D1000004 00BA2510
	v_cmp_u_f32_e64 s[46:47], v79, v79                         // 000000005794: D048002E 00029F4F
	v_add3_u32 v16, v79, v19, 1                                // 00000000579C: D1FF0010 0206274F
	v_cndmask_b32_e64 v5, v16, v18, s[46:47]                   // 0000000057A4: D1000005 00BA2510
	v_perm_b32 v67, v5, v4, s52                                // 0000000057AC: D1ED0043 00D20905
	v_cmp_u_f32_e64 s[46:47], v80, v80                         // 0000000057B4: D048002E 0002A150
	v_add3_u32 v16, v80, v19, 1                                // 0000000057BC: D1FF0010 02062750
	v_cndmask_b32_e64 v4, v16, v18, s[46:47]                   // 0000000057C4: D1000004 00BA2510
	v_cmp_u_f32_e64 s[46:47], v81, v81                         // 0000000057CC: D048002E 0002A351
	v_add3_u32 v16, v81, v19, 1                                // 0000000057D4: D1FF0010 02062751
	v_cndmask_b32_e64 v5, v16, v18, s[46:47]                   // 0000000057DC: D1000005 00BA2510
	v_perm_b32 v68, v5, v4, s52                                // 0000000057E4: D1ED0044 00D20905
	v_cmp_u_f32_e64 s[46:47], v82, v82                         // 0000000057EC: D048002E 0002A552
	v_add3_u32 v16, v82, v19, 1                                // 0000000057F4: D1FF0010 02062752
	v_cndmask_b32_e64 v4, v16, v18, s[46:47]                   // 0000000057FC: D1000004 00BA2510
	v_cmp_u_f32_e64 s[46:47], v83, v83                         // 000000005804: D048002E 0002A753
	v_add3_u32 v16, v83, v19, 1                                // 00000000580C: D1FF0010 02062753
	v_cndmask_b32_e64 v5, v16, v18, s[46:47]                   // 000000005814: D1000005 00BA2510
	v_perm_b32 v69, v5, v4, s52                                // 00000000581C: D1ED0045 00D20905
	v_cmp_u_f32_e64 s[46:47], v84, v84                         // 000000005824: D048002E 0002A954
	v_add3_u32 v16, v84, v19, 1                                // 00000000582C: D1FF0010 02062754
	v_cndmask_b32_e64 v4, v16, v18, s[46:47]                   // 000000005834: D1000004 00BA2510
	v_cmp_u_f32_e64 s[46:47], v85, v85                         // 00000000583C: D048002E 0002AB55
	v_add3_u32 v16, v85, v19, 1                                // 000000005844: D1FF0010 02062755
	v_cndmask_b32_e64 v5, v16, v18, s[46:47]                   // 00000000584C: D1000005 00BA2510
	v_perm_b32 v70, v5, v4, s52                                // 000000005854: D1ED0046 00D20905
	v_cmp_u_f32_e64 s[46:47], v86, v86                         // 00000000585C: D048002E 0002AD56
	v_add3_u32 v16, v86, v19, 1                                // 000000005864: D1FF0010 02062756
	v_cndmask_b32_e64 v4, v16, v18, s[46:47]                   // 00000000586C: D1000004 00BA2510
	v_cmp_u_f32_e64 s[46:47], v87, v87                         // 000000005874: D048002E 0002AF57
	v_add3_u32 v16, v87, v19, 1                                // 00000000587C: D1FF0010 02062757
	v_cndmask_b32_e64 v5, v16, v18, s[46:47]                   // 000000005884: D1000005 00BA2510
	v_perm_b32 v71, v5, v4, s52                                // 00000000588C: D1ED0047 00D20905
	ds_write_b64 v20, v[56:57]                                 // 000000005894: D89A0000 00003814
	ds_write_b64 v20, v[58:59] offset:4352                     // 00000000589C: D89A1100 00003A14
	ds_write_b64 v20, v[60:61] offset:8704                     // 0000000058A4: D89A2200 00003C14
	ds_write_b64 v20, v[62:63] offset:13056                    // 0000000058AC: D89A3300 00003E14
	ds_write_b64 v20, v[64:65] offset:2176                     // 0000000058B4: D89A0880 00004014
	ds_write_b64 v20, v[66:67] offset:6528                     // 0000000058BC: D89A1980 00004214
	ds_write_b64 v20, v[68:69] offset:10880                    // 0000000058C4: D89A2A80 00004414
	ds_write_b64 v20, v[70:71] offset:15232                    // 0000000058CC: D89A3B80 00004614
	v_lshrrev_b32_e32 v4, 5, v0                                // 0000000058D4: 20080085
	v_xor_b32_e32 v5, 1, v4                                    // 0000000058D8: 2A0A0881
	s_mul_i32 s60, s65, 2                                      // 0000000058DC: 923C8241
	s_cmp_eq_u32 s88, 0                                        // 0000000058E0: BF068058
	s_cselect_b32 s61, 1, 4                                    // 0000000058E4: 853D8481
	s_mul_i32 s60, s61, s60                                    // 0000000058E8: 923C3C3D
	v_readlane_b32 s82, v3, 0                                  // 0000000058EC: D2890052 00010103
	s_lshr_b32 s61, s82, 24                                    // 0000000058F4: 8F3D9852
	s_and_b32 s82, s82, 0xffffff                               // 0000000058F8: 8652FF52 00FFFFFF
	s_mul_i32 s82, s82, s71                                    // 000000005900: 92524752
	s_mul_i32 s61, s60, s61                                    // 000000005904: 923D3D3C
	s_add_u32 s82, s82, s61                                    // 000000005908: 80523D52
	v_mul_lo_u32 v6, v5, s82                                   // 00000000590C: D2850006 0000A505
	v_readlane_b32 s82, v3, 1                                  // 000000005914: D2890052 00010303
	s_lshr_b32 s61, s82, 24                                    // 00000000591C: 8F3D9852
	s_and_b32 s82, s82, 0xffffff                               // 000000005920: 8652FF52 00FFFFFF
	s_mul_i32 s82, s82, s71                                    // 000000005928: 92524752
	s_mul_i32 s61, s60, s61                                    // 00000000592C: 923D3D3C
	s_add_u32 s82, s82, s61                                    // 000000005930: 80523D52
	v_mul_lo_u32 v7, v4, s82                                   // 000000005934: D2850007 0000A504
	v_add_u32_e32 v46, v6, v7                                  // 00000000593C: 685C0F06
	v_readlane_b32 s82, v3, 2                                  // 000000005940: D2890052 00010503
	s_lshr_b32 s61, s82, 24                                    // 000000005948: 8F3D9852
	s_and_b32 s82, s82, 0xffffff                               // 00000000594C: 8652FF52 00FFFFFF
	s_mul_i32 s82, s82, s71                                    // 000000005954: 92524752
	s_mul_i32 s61, s60, s61                                    // 000000005958: 923D3D3C
	s_add_u32 s82, s82, s61                                    // 00000000595C: 80523D52
	v_mul_lo_u32 v6, v5, s82                                   // 000000005960: D2850006 0000A505
	v_readlane_b32 s82, v3, 3                                  // 000000005968: D2890052 00010703
	s_lshr_b32 s61, s82, 24                                    // 000000005970: 8F3D9852
	s_and_b32 s82, s82, 0xffffff                               // 000000005974: 8652FF52 00FFFFFF
	s_mul_i32 s82, s82, s71                                    // 00000000597C: 92524752
	s_mul_i32 s61, s60, s61                                    // 000000005980: 923D3D3C
	s_add_u32 s82, s82, s61                                    // 000000005984: 80523D52
	v_mul_lo_u32 v7, v4, s82                                   // 000000005988: D2850007 0000A504
	v_add_u32_e32 v47, v6, v7                                  // 000000005990: 685E0F06
	v_readlane_b32 s82, v3, 4                                  // 000000005994: D2890052 00010903
	s_lshr_b32 s61, s82, 24                                    // 00000000599C: 8F3D9852
	s_and_b32 s82, s82, 0xffffff                               // 0000000059A0: 8652FF52 00FFFFFF
	s_mul_i32 s82, s82, s71                                    // 0000000059A8: 92524752
	s_mul_i32 s61, s60, s61                                    // 0000000059AC: 923D3D3C
	s_add_u32 s82, s82, s61                                    // 0000000059B0: 80523D52
	v_mul_lo_u32 v6, v5, s82                                   // 0000000059B4: D2850006 0000A505
	v_readlane_b32 s82, v3, 5                                  // 0000000059BC: D2890052 00010B03
	s_lshr_b32 s61, s82, 24                                    // 0000000059C4: 8F3D9852
	s_and_b32 s82, s82, 0xffffff                               // 0000000059C8: 8652FF52 00FFFFFF
	s_mul_i32 s82, s82, s71                                    // 0000000059D0: 92524752
	s_mul_i32 s61, s60, s61                                    // 0000000059D4: 923D3D3C
	s_add_u32 s82, s82, s61                                    // 0000000059D8: 80523D52
	v_mul_lo_u32 v7, v4, s82                                   // 0000000059DC: D2850007 0000A504
	v_add_u32_e32 v48, v6, v7                                  // 0000000059E4: 68600F06
	v_readlane_b32 s82, v3, 6                                  // 0000000059E8: D2890052 00010D03
	s_lshr_b32 s61, s82, 24                                    // 0000000059F0: 8F3D9852
	s_and_b32 s82, s82, 0xffffff                               // 0000000059F4: 8652FF52 00FFFFFF
	s_mul_i32 s82, s82, s71                                    // 0000000059FC: 92524752
	s_mul_i32 s61, s60, s61                                    // 000000005A00: 923D3D3C
	s_add_u32 s82, s82, s61                                    // 000000005A04: 80523D52
	v_mul_lo_u32 v6, v5, s82                                   // 000000005A08: D2850006 0000A505
	v_readlane_b32 s82, v3, 7                                  // 000000005A10: D2890052 00010F03
	s_lshr_b32 s61, s82, 24                                    // 000000005A18: 8F3D9852
	s_and_b32 s82, s82, 0xffffff                               // 000000005A1C: 8652FF52 00FFFFFF
	s_mul_i32 s82, s82, s71                                    // 000000005A24: 92524752
	s_mul_i32 s61, s60, s61                                    // 000000005A28: 923D3D3C
	s_add_u32 s82, s82, s61                                    // 000000005A2C: 80523D52
	v_mul_lo_u32 v7, v4, s82                                   // 000000005A30: D2850007 0000A504
	v_add_u32_e32 v49, v6, v7                                  // 000000005A38: 68620F06
	v_readlane_b32 s82, v3, 8                                  // 000000005A3C: D2890052 00011103
	s_lshr_b32 s61, s82, 24                                    // 000000005A44: 8F3D9852
	s_and_b32 s82, s82, 0xffffff                               // 000000005A48: 8652FF52 00FFFFFF
	s_mul_i32 s82, s82, s71                                    // 000000005A50: 92524752
	s_mul_i32 s61, s60, s61                                    // 000000005A54: 923D3D3C
	s_add_u32 s82, s82, s61                                    // 000000005A58: 80523D52
	v_mul_lo_u32 v6, v5, s82                                   // 000000005A5C: D2850006 0000A505
	v_readlane_b32 s82, v3, 9                                  // 000000005A64: D2890052 00011303
	s_lshr_b32 s61, s82, 24                                    // 000000005A6C: 8F3D9852
	s_and_b32 s82, s82, 0xffffff                               // 000000005A70: 8652FF52 00FFFFFF
	s_mul_i32 s82, s82, s71                                    // 000000005A78: 92524752
	s_mul_i32 s61, s60, s61                                    // 000000005A7C: 923D3D3C
	s_add_u32 s82, s82, s61                                    // 000000005A80: 80523D52
	v_mul_lo_u32 v7, v4, s82                                   // 000000005A84: D2850007 0000A504
	v_add_u32_e32 v50, v6, v7                                  // 000000005A8C: 68640F06
	v_readlane_b32 s82, v3, 10                                 // 000000005A90: D2890052 00011503
	s_lshr_b32 s61, s82, 24                                    // 000000005A98: 8F3D9852
	s_and_b32 s82, s82, 0xffffff                               // 000000005A9C: 8652FF52 00FFFFFF
	s_mul_i32 s82, s82, s71                                    // 000000005AA4: 92524752
	s_mul_i32 s61, s60, s61                                    // 000000005AA8: 923D3D3C
	s_add_u32 s82, s82, s61                                    // 000000005AAC: 80523D52
	v_mul_lo_u32 v6, v5, s82                                   // 000000005AB0: D2850006 0000A505
	v_readlane_b32 s82, v3, 11                                 // 000000005AB8: D2890052 00011703
	s_lshr_b32 s61, s82, 24                                    // 000000005AC0: 8F3D9852
	s_and_b32 s82, s82, 0xffffff                               // 000000005AC4: 8652FF52 00FFFFFF
	s_mul_i32 s82, s82, s71                                    // 000000005ACC: 92524752
	s_mul_i32 s61, s60, s61                                    // 000000005AD0: 923D3D3C
	s_add_u32 s82, s82, s61                                    // 000000005AD4: 80523D52
	v_mul_lo_u32 v7, v4, s82                                   // 000000005AD8: D2850007 0000A504
	v_add_u32_e32 v51, v6, v7                                  // 000000005AE0: 68660F06
	v_readlane_b32 s82, v3, 12                                 // 000000005AE4: D2890052 00011903
	s_lshr_b32 s61, s82, 24                                    // 000000005AEC: 8F3D9852
	s_and_b32 s82, s82, 0xffffff                               // 000000005AF0: 8652FF52 00FFFFFF
	s_mul_i32 s82, s82, s71                                    // 000000005AF8: 92524752
	s_mul_i32 s61, s60, s61                                    // 000000005AFC: 923D3D3C
	s_add_u32 s82, s82, s61                                    // 000000005B00: 80523D52
	v_mul_lo_u32 v6, v5, s82                                   // 000000005B04: D2850006 0000A505
	v_readlane_b32 s82, v3, 13                                 // 000000005B0C: D2890052 00011B03
	s_lshr_b32 s61, s82, 24                                    // 000000005B14: 8F3D9852
	s_and_b32 s82, s82, 0xffffff                               // 000000005B18: 8652FF52 00FFFFFF
	s_mul_i32 s82, s82, s71                                    // 000000005B20: 92524752
	s_mul_i32 s61, s60, s61                                    // 000000005B24: 923D3D3C
	s_add_u32 s82, s82, s61                                    // 000000005B28: 80523D52
	v_mul_lo_u32 v7, v4, s82                                   // 000000005B2C: D2850007 0000A504
	v_add_u32_e32 v52, v6, v7                                  // 000000005B34: 68680F06
	v_readlane_b32 s82, v3, 14                                 // 000000005B38: D2890052 00011D03
	s_lshr_b32 s61, s82, 24                                    // 000000005B40: 8F3D9852
	s_and_b32 s82, s82, 0xffffff                               // 000000005B44: 8652FF52 00FFFFFF
	s_mul_i32 s82, s82, s71                                    // 000000005B4C: 92524752
	s_mul_i32 s61, s60, s61                                    // 000000005B50: 923D3D3C
	s_add_u32 s82, s82, s61                                    // 000000005B54: 80523D52
	v_mul_lo_u32 v6, v5, s82                                   // 000000005B58: D2850006 0000A505
	v_readlane_b32 s82, v3, 15                                 // 000000005B60: D2890052 00011F03
	s_lshr_b32 s61, s82, 24                                    // 000000005B68: 8F3D9852
	s_and_b32 s82, s82, 0xffffff                               // 000000005B6C: 8652FF52 00FFFFFF
	s_mul_i32 s82, s82, s71                                    // 000000005B74: 92524752
	s_mul_i32 s61, s60, s61                                    // 000000005B78: 923D3D3C
	s_add_u32 s82, s82, s61                                    // 000000005B7C: 80523D52
	v_mul_lo_u32 v7, v4, s82                                   // 000000005B80: D2850007 0000A504
	v_add_u32_e32 v53, v6, v7                                  // 000000005B88: 686A0F06
	v_and_b32_e32 v4, 31, v0                                   // 000000005B8C: 2608009F
	v_lshrrev_b32_e32 v4, 1, v4                                // 000000005B90: 20080881
	s_cmp_eq_u32 s88, 0                                        // 000000005B94: BF068058
	s_cselect_b32 s61, 2, 4                                    // 000000005B98: 853D8482
	v_mul_lo_u32 v4, v4, s61                                   // 000000005B9C: D2850004 00007B04
	v_and_b32_e64 v5, v0, 1                                    // 000000005BA4: D1130005 00010300
	v_add_u32_e32 v4, v4, v5                                   // 000000005BAC: 68080B04
	v_lshlrev_b32_e32 v4, 2, v4                                // 000000005BB0: 24080882
	v_add_u32_e32 v46, v46, v4                                 // 000000005BB4: 685C092E
	v_add_u32_e32 v47, v47, v4                                 // 000000005BB8: 685E092F
	v_add_u32_e32 v48, v48, v4                                 // 000000005BBC: 68600930
	v_add_u32_e32 v49, v49, v4                                 // 000000005BC0: 68620931
	v_add_u32_e32 v50, v50, v4                                 // 000000005BC4: 68640932
	v_add_u32_e32 v51, v51, v4                                 // 000000005BC8: 68660933
	v_add_u32_e32 v52, v52, v4                                 // 000000005BCC: 68680934
	v_add_u32_e32 v53, v53, v4                                 // 000000005BD0: 686A0935
	s_waitcnt lgkmcnt(0)                                       // 000000005BD4: BF8CC07F
	s_barrier                                                  // 000000005BD8: BF8A0000
	ds_read_b32 v56, v21                                       // 000000005BDC: D86C0000 38000015
	ds_read_b32 v57, v21 offset:64                             // 000000005BE4: D86C0040 39000015
	ds_read_b32 v58, v21 offset:2176                           // 000000005BEC: D86C0880 3A000015
	ds_read_b32 v59, v21 offset:2240                           // 000000005BF4: D86C08C0 3B000015
	ds_read_b32 v60, v21 offset:4352                           // 000000005BFC: D86C1100 3C000015
	ds_read_b32 v61, v21 offset:4416                           // 000000005C04: D86C1140 3D000015
	ds_read_b32 v62, v21 offset:6528                           // 000000005C0C: D86C1980 3E000015
	ds_read_b32 v63, v21 offset:6592                           // 000000005C14: D86C19C0 3F000015
	ds_read_b32 v64, v21 offset:8704                           // 000000005C1C: D86C2200 40000015
	ds_read_b32 v65, v21 offset:8768                           // 000000005C24: D86C2240 41000015
	ds_read_b32 v66, v21 offset:10880                          // 000000005C2C: D86C2A80 42000015
	ds_read_b32 v67, v21 offset:10944                          // 000000005C34: D86C2AC0 43000015
	ds_read_b32 v68, v21 offset:13056                          // 000000005C3C: D86C3300 44000015
	ds_read_b32 v69, v21 offset:13120                          // 000000005C44: D86C3340 45000015
	ds_read_b32 v70, v21 offset:15232                          // 000000005C4C: D86C3B80 46000015
	ds_read_b32 v71, v21 offset:15296                          // 000000005C54: D86C3BC0 47000015
	s_waitcnt lgkmcnt(0)                                       // 000000005C5C: BF8CC07F
	s_mov_b32 s36, -1                                          // 000000005C60: BEA400C1
	s_mov_b32 s37, -1                                          // 000000005C64: BEA500C1
	v_mov_b32_e32 v7, 0                                        // 000000005C68: 7E0E0280
	s_or_b32 s9, s9, 0x40000                                   // 000000005C6C: 8709FF09 00040000
	s_mov_b64 exec, s[36:37]                                   // 000000005C74: BEFE0124
	v_mov_b32_e32 v6, v46                                      // 000000005C78: 7E0C032E
	s_mov_b64 s[60:61], 0                                      // 000000005C7C: BEBC0180
	v_readlane_b32 s82, v3, 0                                  // 000000005C80: D2890052 00010103
	s_and_b32 s82, s82, 0xffffff                               // 000000005C88: 8652FF52 00FFFFFF
	s_cmp_lt_u32 s82, s66                                      // 000000005C90: BF0A4252
	s_cselect_b32 s20, s36, s60                                // 000000005C94: 85143C24
	v_readlane_b32 s82, v3, 1                                  // 000000005C98: D2890052 00010303
	s_and_b32 s82, s82, 0xffffff                               // 000000005CA0: 8652FF52 00FFFFFF
	s_cmp_lt_u32 s82, s66                                      // 000000005CA8: BF0A4252
	s_cselect_b32 s21, s36, s60                                // 000000005CAC: 85153C24
	s_mov_b64 exec, s[20:21]                                   // 000000005CB0: BEFE0114
	buffer_store_dword v56, v6, s[8:11], 0 offen               // 000000005CB4: E0701000 80023806
	buffer_store_dword v58, v6, s[8:11], 0 offen offset:128    // 000000005CBC: E0701080 80023A06
	s_mov_b64 exec, s[36:37]                                   // 000000005CC4: BEFE0124
	v_mov_b32_e32 v6, v47                                      // 000000005CC8: 7E0C032F
	s_mov_b64 s[60:61], 0                                      // 000000005CCC: BEBC0180
	v_readlane_b32 s82, v3, 2                                  // 000000005CD0: D2890052 00010503
	s_and_b32 s82, s82, 0xffffff                               // 000000005CD8: 8652FF52 00FFFFFF
	s_cmp_lt_u32 s82, s66                                      // 000000005CE0: BF0A4252
	s_cselect_b32 s20, s36, s60                                // 000000005CE4: 85143C24
	v_readlane_b32 s82, v3, 3                                  // 000000005CE8: D2890052 00010703
	s_and_b32 s82, s82, 0xffffff                               // 000000005CF0: 8652FF52 00FFFFFF
	s_cmp_lt_u32 s82, s66                                      // 000000005CF8: BF0A4252
	s_cselect_b32 s21, s36, s60                                // 000000005CFC: 85153C24
	s_mov_b64 exec, s[20:21]                                   // 000000005D00: BEFE0114
	buffer_store_dword v57, v6, s[8:11], 0 offen               // 000000005D04: E0701000 80023906
	buffer_store_dword v59, v6, s[8:11], 0 offen offset:128    // 000000005D0C: E0701080 80023B06
	s_mov_b64 exec, s[36:37]                                   // 000000005D14: BEFE0124
	v_mov_b32_e32 v6, v48                                      // 000000005D18: 7E0C0330
	s_mov_b64 s[60:61], 0                                      // 000000005D1C: BEBC0180
	v_readlane_b32 s82, v3, 4                                  // 000000005D20: D2890052 00010903
	s_and_b32 s82, s82, 0xffffff                               // 000000005D28: 8652FF52 00FFFFFF
	s_cmp_lt_u32 s82, s66                                      // 000000005D30: BF0A4252
	s_cselect_b32 s20, s36, s60                                // 000000005D34: 85143C24
	v_readlane_b32 s82, v3, 5                                  // 000000005D38: D2890052 00010B03
	s_and_b32 s82, s82, 0xffffff                               // 000000005D40: 8652FF52 00FFFFFF
	s_cmp_lt_u32 s82, s66                                      // 000000005D48: BF0A4252
	s_cselect_b32 s21, s36, s60                                // 000000005D4C: 85153C24
	s_mov_b64 exec, s[20:21]                                   // 000000005D50: BEFE0114
	buffer_store_dword v60, v6, s[8:11], 0 offen               // 000000005D54: E0701000 80023C06
	buffer_store_dword v62, v6, s[8:11], 0 offen offset:128    // 000000005D5C: E0701080 80023E06
	s_mov_b64 exec, s[36:37]                                   // 000000005D64: BEFE0124
	v_mov_b32_e32 v6, v49                                      // 000000005D68: 7E0C0331
	s_mov_b64 s[60:61], 0                                      // 000000005D6C: BEBC0180
	v_readlane_b32 s82, v3, 6                                  // 000000005D70: D2890052 00010D03
	s_and_b32 s82, s82, 0xffffff                               // 000000005D78: 8652FF52 00FFFFFF
	s_cmp_lt_u32 s82, s66                                      // 000000005D80: BF0A4252
	s_cselect_b32 s20, s36, s60                                // 000000005D84: 85143C24
	v_readlane_b32 s82, v3, 7                                  // 000000005D88: D2890052 00010F03
	s_and_b32 s82, s82, 0xffffff                               // 000000005D90: 8652FF52 00FFFFFF
	s_cmp_lt_u32 s82, s66                                      // 000000005D98: BF0A4252
	s_cselect_b32 s21, s36, s60                                // 000000005D9C: 85153C24
	s_mov_b64 exec, s[20:21]                                   // 000000005DA0: BEFE0114
	buffer_store_dword v61, v6, s[8:11], 0 offen               // 000000005DA4: E0701000 80023D06
	buffer_store_dword v63, v6, s[8:11], 0 offen offset:128    // 000000005DAC: E0701080 80023F06
	s_mov_b64 exec, s[36:37]                                   // 000000005DB4: BEFE0124
	v_mov_b32_e32 v6, v50                                      // 000000005DB8: 7E0C0332
	s_mov_b64 s[60:61], 0                                      // 000000005DBC: BEBC0180
	v_readlane_b32 s82, v3, 8                                  // 000000005DC0: D2890052 00011103
	s_and_b32 s82, s82, 0xffffff                               // 000000005DC8: 8652FF52 00FFFFFF
	s_cmp_lt_u32 s82, s66                                      // 000000005DD0: BF0A4252
	s_cselect_b32 s20, s36, s60                                // 000000005DD4: 85143C24
	v_readlane_b32 s82, v3, 9                                  // 000000005DD8: D2890052 00011303
	s_and_b32 s82, s82, 0xffffff                               // 000000005DE0: 8652FF52 00FFFFFF
	s_cmp_lt_u32 s82, s66                                      // 000000005DE8: BF0A4252
	s_cselect_b32 s21, s36, s60                                // 000000005DEC: 85153C24
	s_mov_b64 exec, s[20:21]                                   // 000000005DF0: BEFE0114
	buffer_store_dword v64, v6, s[8:11], 0 offen               // 000000005DF4: E0701000 80024006
	buffer_store_dword v66, v6, s[8:11], 0 offen offset:128    // 000000005DFC: E0701080 80024206
	s_mov_b64 exec, s[36:37]                                   // 000000005E04: BEFE0124
	v_mov_b32_e32 v6, v51                                      // 000000005E08: 7E0C0333
	s_mov_b64 s[60:61], 0                                      // 000000005E0C: BEBC0180
	v_readlane_b32 s82, v3, 10                                 // 000000005E10: D2890052 00011503
	s_and_b32 s82, s82, 0xffffff                               // 000000005E18: 8652FF52 00FFFFFF
	s_cmp_lt_u32 s82, s66                                      // 000000005E20: BF0A4252
	s_cselect_b32 s20, s36, s60                                // 000000005E24: 85143C24
	v_readlane_b32 s82, v3, 11                                 // 000000005E28: D2890052 00011703
	s_and_b32 s82, s82, 0xffffff                               // 000000005E30: 8652FF52 00FFFFFF
	s_cmp_lt_u32 s82, s66                                      // 000000005E38: BF0A4252
	s_cselect_b32 s21, s36, s60                                // 000000005E3C: 85153C24
	s_mov_b64 exec, s[20:21]                                   // 000000005E40: BEFE0114
	buffer_store_dword v65, v6, s[8:11], 0 offen               // 000000005E44: E0701000 80024106
	buffer_store_dword v67, v6, s[8:11], 0 offen offset:128    // 000000005E4C: E0701080 80024306
	s_mov_b64 exec, s[36:37]                                   // 000000005E54: BEFE0124
	v_mov_b32_e32 v6, v52                                      // 000000005E58: 7E0C0334
	s_mov_b64 s[60:61], 0                                      // 000000005E5C: BEBC0180
	v_readlane_b32 s82, v3, 12                                 // 000000005E60: D2890052 00011903
	s_and_b32 s82, s82, 0xffffff                               // 000000005E68: 8652FF52 00FFFFFF
	s_cmp_lt_u32 s82, s66                                      // 000000005E70: BF0A4252
	s_cselect_b32 s20, s36, s60                                // 000000005E74: 85143C24
	v_readlane_b32 s82, v3, 13                                 // 000000005E78: D2890052 00011B03
	s_and_b32 s82, s82, 0xffffff                               // 000000005E80: 8652FF52 00FFFFFF
	s_cmp_lt_u32 s82, s66                                      // 000000005E88: BF0A4252
	s_cselect_b32 s21, s36, s60                                // 000000005E8C: 85153C24
	s_mov_b64 exec, s[20:21]                                   // 000000005E90: BEFE0114
	buffer_store_dword v68, v6, s[8:11], 0 offen               // 000000005E94: E0701000 80024406
	buffer_store_dword v70, v6, s[8:11], 0 offen offset:128    // 000000005E9C: E0701080 80024606
	s_mov_b64 exec, s[36:37]                                   // 000000005EA4: BEFE0124
	v_mov_b32_e32 v6, v53                                      // 000000005EA8: 7E0C0335
	s_mov_b64 s[60:61], 0                                      // 000000005EAC: BEBC0180
	v_readlane_b32 s82, v3, 14                                 // 000000005EB0: D2890052 00011D03
	s_and_b32 s82, s82, 0xffffff                               // 000000005EB8: 8652FF52 00FFFFFF
	s_cmp_lt_u32 s82, s66                                      // 000000005EC0: BF0A4252
	s_cselect_b32 s20, s36, s60                                // 000000005EC4: 85143C24
	v_readlane_b32 s82, v3, 15                                 // 000000005EC8: D2890052 00011F03
	s_and_b32 s82, s82, 0xffffff                               // 000000005ED0: 8652FF52 00FFFFFF
	s_cmp_lt_u32 s82, s66                                      // 000000005ED8: BF0A4252
	s_cselect_b32 s21, s36, s60                                // 000000005EDC: 85153C24
	s_mov_b64 exec, s[20:21]                                   // 000000005EE0: BEFE0114
	buffer_store_dword v69, v6, s[8:11], 0 offen               // 000000005EE4: E0701000 80024506
	buffer_store_dword v71, v6, s[8:11], 0 offen offset:128    // 000000005EEC: E0701080 80024706
	s_mov_b64 exec, s[36:37]                                   // 000000005EF4: BEFE0124
	s_branch label_204C                                        // 000000005EF8: BF82130A

0000000000005efc <label_0D3F>:
	ds_write_b64 v20, v[56:57]                                 // 000000005EFC: D89A0000 00003814
	ds_write_b64 v20, v[60:61] offset:4352                     // 000000005F04: D89A1100 00003C14
	ds_write_b64 v20, v[64:65] offset:8704                     // 000000005F0C: D89A2200 00004014
	ds_write_b64 v20, v[68:69] offset:13056                    // 000000005F14: D89A3300 00004414
	ds_write_b64 v20, v[72:73] offset:2176                     // 000000005F1C: D89A0880 00004814
	ds_write_b64 v20, v[76:77] offset:6528                     // 000000005F24: D89A1980 00004C14
	ds_write_b64 v20, v[80:81] offset:10880                    // 000000005F2C: D89A2A80 00005014
	ds_write_b64 v20, v[84:85] offset:15232                    // 000000005F34: D89A3B80 00005414
	v_lshrrev_b32_e32 v4, 5, v0                                // 000000005F3C: 20080085
	v_xor_b32_e32 v5, 1, v4                                    // 000000005F40: 2A0A0881
	s_mul_i32 s60, s65, 2                                      // 000000005F44: 923C8241
	s_cmp_eq_u32 s88, 0                                        // 000000005F48: BF068058
	s_cselect_b32 s61, 1, 4                                    // 000000005F4C: 853D8481
	s_mul_i32 s60, s61, s60                                    // 000000005F50: 923C3C3D
	v_readlane_b32 s82, v3, 0                                  // 000000005F54: D2890052 00010103
	s_lshr_b32 s61, s82, 24                                    // 000000005F5C: 8F3D9852
	s_and_b32 s82, s82, 0xffffff                               // 000000005F60: 8652FF52 00FFFFFF
	s_mul_i32 s82, s82, s71                                    // 000000005F68: 92524752
	s_mul_i32 s61, s60, s61                                    // 000000005F6C: 923D3D3C
	s_add_u32 s82, s82, s61                                    // 000000005F70: 80523D52
	v_mul_lo_u32 v6, v5, s82                                   // 000000005F74: D2850006 0000A505
	v_readlane_b32 s82, v3, 1                                  // 000000005F7C: D2890052 00010303
	s_lshr_b32 s61, s82, 24                                    // 000000005F84: 8F3D9852
	s_and_b32 s82, s82, 0xffffff                               // 000000005F88: 8652FF52 00FFFFFF
	s_mul_i32 s82, s82, s71                                    // 000000005F90: 92524752
	s_mul_i32 s61, s60, s61                                    // 000000005F94: 923D3D3C
	s_add_u32 s82, s82, s61                                    // 000000005F98: 80523D52
	v_mul_lo_u32 v7, v4, s82                                   // 000000005F9C: D2850007 0000A504
	v_add_u32_e32 v46, v6, v7                                  // 000000005FA4: 685C0F06
	v_readlane_b32 s82, v3, 2                                  // 000000005FA8: D2890052 00010503
	s_lshr_b32 s61, s82, 24                                    // 000000005FB0: 8F3D9852
	s_and_b32 s82, s82, 0xffffff                               // 000000005FB4: 8652FF52 00FFFFFF
	s_mul_i32 s82, s82, s71                                    // 000000005FBC: 92524752
	s_mul_i32 s61, s60, s61                                    // 000000005FC0: 923D3D3C
	s_add_u32 s82, s82, s61                                    // 000000005FC4: 80523D52
	v_mul_lo_u32 v6, v5, s82                                   // 000000005FC8: D2850006 0000A505
	v_readlane_b32 s82, v3, 3                                  // 000000005FD0: D2890052 00010703
	s_lshr_b32 s61, s82, 24                                    // 000000005FD8: 8F3D9852
	s_and_b32 s82, s82, 0xffffff                               // 000000005FDC: 8652FF52 00FFFFFF
	s_mul_i32 s82, s82, s71                                    // 000000005FE4: 92524752
	s_mul_i32 s61, s60, s61                                    // 000000005FE8: 923D3D3C
	s_add_u32 s82, s82, s61                                    // 000000005FEC: 80523D52
	v_mul_lo_u32 v7, v4, s82                                   // 000000005FF0: D2850007 0000A504
	v_add_u32_e32 v47, v6, v7                                  // 000000005FF8: 685E0F06
	v_readlane_b32 s82, v3, 4                                  // 000000005FFC: D2890052 00010903
	s_lshr_b32 s61, s82, 24                                    // 000000006004: 8F3D9852
	s_and_b32 s82, s82, 0xffffff                               // 000000006008: 8652FF52 00FFFFFF
	s_mul_i32 s82, s82, s71                                    // 000000006010: 92524752
	s_mul_i32 s61, s60, s61                                    // 000000006014: 923D3D3C
	s_add_u32 s82, s82, s61                                    // 000000006018: 80523D52
	v_mul_lo_u32 v6, v5, s82                                   // 00000000601C: D2850006 0000A505
	v_readlane_b32 s82, v3, 5                                  // 000000006024: D2890052 00010B03
	s_lshr_b32 s61, s82, 24                                    // 00000000602C: 8F3D9852
	s_and_b32 s82, s82, 0xffffff                               // 000000006030: 8652FF52 00FFFFFF
	s_mul_i32 s82, s82, s71                                    // 000000006038: 92524752
	s_mul_i32 s61, s60, s61                                    // 00000000603C: 923D3D3C
	s_add_u32 s82, s82, s61                                    // 000000006040: 80523D52
	v_mul_lo_u32 v7, v4, s82                                   // 000000006044: D2850007 0000A504
	v_add_u32_e32 v48, v6, v7                                  // 00000000604C: 68600F06
	v_readlane_b32 s82, v3, 6                                  // 000000006050: D2890052 00010D03
	s_lshr_b32 s61, s82, 24                                    // 000000006058: 8F3D9852
	s_and_b32 s82, s82, 0xffffff                               // 00000000605C: 8652FF52 00FFFFFF
	s_mul_i32 s82, s82, s71                                    // 000000006064: 92524752
	s_mul_i32 s61, s60, s61                                    // 000000006068: 923D3D3C
	s_add_u32 s82, s82, s61                                    // 00000000606C: 80523D52
	v_mul_lo_u32 v6, v5, s82                                   // 000000006070: D2850006 0000A505
	v_readlane_b32 s82, v3, 7                                  // 000000006078: D2890052 00010F03
	s_lshr_b32 s61, s82, 24                                    // 000000006080: 8F3D9852
	s_and_b32 s82, s82, 0xffffff                               // 000000006084: 8652FF52 00FFFFFF
	s_mul_i32 s82, s82, s71                                    // 00000000608C: 92524752
	s_mul_i32 s61, s60, s61                                    // 000000006090: 923D3D3C
	s_add_u32 s82, s82, s61                                    // 000000006094: 80523D52
	v_mul_lo_u32 v7, v4, s82                                   // 000000006098: D2850007 0000A504
	v_add_u32_e32 v49, v6, v7                                  // 0000000060A0: 68620F06
	v_readlane_b32 s82, v3, 8                                  // 0000000060A4: D2890052 00011103
	s_lshr_b32 s61, s82, 24                                    // 0000000060AC: 8F3D9852
	s_and_b32 s82, s82, 0xffffff                               // 0000000060B0: 8652FF52 00FFFFFF
	s_mul_i32 s82, s82, s71                                    // 0000000060B8: 92524752
	s_mul_i32 s61, s60, s61                                    // 0000000060BC: 923D3D3C
	s_add_u32 s82, s82, s61                                    // 0000000060C0: 80523D52
	v_mul_lo_u32 v6, v5, s82                                   // 0000000060C4: D2850006 0000A505
	v_readlane_b32 s82, v3, 9                                  // 0000000060CC: D2890052 00011303
	s_lshr_b32 s61, s82, 24                                    // 0000000060D4: 8F3D9852
	s_and_b32 s82, s82, 0xffffff                               // 0000000060D8: 8652FF52 00FFFFFF
	s_mul_i32 s82, s82, s71                                    // 0000000060E0: 92524752
	s_mul_i32 s61, s60, s61                                    // 0000000060E4: 923D3D3C
	s_add_u32 s82, s82, s61                                    // 0000000060E8: 80523D52
	v_mul_lo_u32 v7, v4, s82                                   // 0000000060EC: D2850007 0000A504
	v_add_u32_e32 v50, v6, v7                                  // 0000000060F4: 68640F06
	v_readlane_b32 s82, v3, 10                                 // 0000000060F8: D2890052 00011503
	s_lshr_b32 s61, s82, 24                                    // 000000006100: 8F3D9852
	s_and_b32 s82, s82, 0xffffff                               // 000000006104: 8652FF52 00FFFFFF
	s_mul_i32 s82, s82, s71                                    // 00000000610C: 92524752
	s_mul_i32 s61, s60, s61                                    // 000000006110: 923D3D3C
	s_add_u32 s82, s82, s61                                    // 000000006114: 80523D52
	v_mul_lo_u32 v6, v5, s82                                   // 000000006118: D2850006 0000A505
	v_readlane_b32 s82, v3, 11                                 // 000000006120: D2890052 00011703
	s_lshr_b32 s61, s82, 24                                    // 000000006128: 8F3D9852
	s_and_b32 s82, s82, 0xffffff                               // 00000000612C: 8652FF52 00FFFFFF
	s_mul_i32 s82, s82, s71                                    // 000000006134: 92524752
	s_mul_i32 s61, s60, s61                                    // 000000006138: 923D3D3C
	s_add_u32 s82, s82, s61                                    // 00000000613C: 80523D52
	v_mul_lo_u32 v7, v4, s82                                   // 000000006140: D2850007 0000A504
	v_add_u32_e32 v51, v6, v7                                  // 000000006148: 68660F06
	v_readlane_b32 s82, v3, 12                                 // 00000000614C: D2890052 00011903
	s_lshr_b32 s61, s82, 24                                    // 000000006154: 8F3D9852
	s_and_b32 s82, s82, 0xffffff                               // 000000006158: 8652FF52 00FFFFFF
	s_mul_i32 s82, s82, s71                                    // 000000006160: 92524752
	s_mul_i32 s61, s60, s61                                    // 000000006164: 923D3D3C
	s_add_u32 s82, s82, s61                                    // 000000006168: 80523D52
	v_mul_lo_u32 v6, v5, s82                                   // 00000000616C: D2850006 0000A505
	v_readlane_b32 s82, v3, 13                                 // 000000006174: D2890052 00011B03
	s_lshr_b32 s61, s82, 24                                    // 00000000617C: 8F3D9852
	s_and_b32 s82, s82, 0xffffff                               // 000000006180: 8652FF52 00FFFFFF
	s_mul_i32 s82, s82, s71                                    // 000000006188: 92524752
	s_mul_i32 s61, s60, s61                                    // 00000000618C: 923D3D3C
	s_add_u32 s82, s82, s61                                    // 000000006190: 80523D52
	v_mul_lo_u32 v7, v4, s82                                   // 000000006194: D2850007 0000A504
	v_add_u32_e32 v52, v6, v7                                  // 00000000619C: 68680F06
	v_readlane_b32 s82, v3, 14                                 // 0000000061A0: D2890052 00011D03
	s_lshr_b32 s61, s82, 24                                    // 0000000061A8: 8F3D9852
	s_and_b32 s82, s82, 0xffffff                               // 0000000061AC: 8652FF52 00FFFFFF
	s_mul_i32 s82, s82, s71                                    // 0000000061B4: 92524752
	s_mul_i32 s61, s60, s61                                    // 0000000061B8: 923D3D3C
	s_add_u32 s82, s82, s61                                    // 0000000061BC: 80523D52
	v_mul_lo_u32 v6, v5, s82                                   // 0000000061C0: D2850006 0000A505
	v_readlane_b32 s82, v3, 15                                 // 0000000061C8: D2890052 00011F03
	s_lshr_b32 s61, s82, 24                                    // 0000000061D0: 8F3D9852
	s_and_b32 s82, s82, 0xffffff                               // 0000000061D4: 8652FF52 00FFFFFF
	s_mul_i32 s82, s82, s71                                    // 0000000061DC: 92524752
	s_mul_i32 s61, s60, s61                                    // 0000000061E0: 923D3D3C
	s_add_u32 s82, s82, s61                                    // 0000000061E4: 80523D52
	v_mul_lo_u32 v7, v4, s82                                   // 0000000061E8: D2850007 0000A504
	v_add_u32_e32 v53, v6, v7                                  // 0000000061F0: 686A0F06
	v_and_b32_e32 v4, 31, v0                                   // 0000000061F4: 2608009F
	v_lshrrev_b32_e32 v4, 1, v4                                // 0000000061F8: 20080881
	s_cmp_eq_u32 s88, 0                                        // 0000000061FC: BF068058
	s_cselect_b32 s61, 2, 4                                    // 000000006200: 853D8482
	v_mul_lo_u32 v4, v4, s61                                   // 000000006204: D2850004 00007B04
	v_and_b32_e64 v5, v0, 1                                    // 00000000620C: D1130005 00010300
	v_add_u32_e32 v4, v4, v5                                   // 000000006214: 68080B04
	v_lshlrev_b32_e32 v4, 2, v4                                // 000000006218: 24080882
	v_add_u32_e32 v46, v46, v4                                 // 00000000621C: 685C092E
	v_add_u32_e32 v47, v47, v4                                 // 000000006220: 685E092F
	v_add_u32_e32 v48, v48, v4                                 // 000000006224: 68600930
	v_add_u32_e32 v49, v49, v4                                 // 000000006228: 68620931
	v_add_u32_e32 v50, v50, v4                                 // 00000000622C: 68640932
	v_add_u32_e32 v51, v51, v4                                 // 000000006230: 68660933
	v_add_u32_e32 v52, v52, v4                                 // 000000006234: 68680934
	v_add_u32_e32 v53, v53, v4                                 // 000000006238: 686A0935
	s_waitcnt lgkmcnt(0)                                       // 00000000623C: BF8CC07F
	s_barrier                                                  // 000000006240: BF8A0000
	ds_read_b32 v56, v21                                       // 000000006244: D86C0000 38000015
	ds_read_b32 v57, v21 offset:64                             // 00000000624C: D86C0040 39000015
	ds_read_b32 v60, v21 offset:2176                           // 000000006254: D86C0880 3C000015
	ds_read_b32 v61, v21 offset:2240                           // 00000000625C: D86C08C0 3D000015
	ds_read_b32 v64, v21 offset:4352                           // 000000006264: D86C1100 40000015
	ds_read_b32 v65, v21 offset:4416                           // 00000000626C: D86C1140 41000015
	ds_read_b32 v68, v21 offset:6528                           // 000000006274: D86C1980 44000015
	ds_read_b32 v69, v21 offset:6592                           // 00000000627C: D86C19C0 45000015
	ds_read_b32 v72, v21 offset:8704                           // 000000006284: D86C2200 48000015
	ds_read_b32 v73, v21 offset:8768                           // 00000000628C: D86C2240 49000015
	ds_read_b32 v76, v21 offset:10880                          // 000000006294: D86C2A80 4C000015
	ds_read_b32 v77, v21 offset:10944                          // 00000000629C: D86C2AC0 4D000015
	ds_read_b32 v80, v21 offset:13056                          // 0000000062A4: D86C3300 50000015
	ds_read_b32 v81, v21 offset:13120                          // 0000000062AC: D86C3340 51000015
	ds_read_b32 v84, v21 offset:15232                          // 0000000062B4: D86C3B80 54000015
	ds_read_b32 v85, v21 offset:15296                          // 0000000062BC: D86C3BC0 55000015
	s_waitcnt lgkmcnt(0)                                       // 0000000062C4: BF8CC07F
	s_mov_b32 s36, -1                                          // 0000000062C8: BEA400C1
	s_mov_b32 s37, -1                                          // 0000000062CC: BEA500C1
	v_mov_b32_e32 v7, 0                                        // 0000000062D0: 7E0E0280
	s_mov_b64 exec, s[36:37]                                   // 0000000062D4: BEFE0124
	v_mov_b32_e32 v6, v46                                      // 0000000062D8: 7E0C032E
	s_mov_b64 s[60:61], 0                                      // 0000000062DC: BEBC0180
	v_readlane_b32 s82, v3, 0                                  // 0000000062E0: D2890052 00010103
	s_and_b32 s82, s82, 0xffffff                               // 0000000062E8: 8652FF52 00FFFFFF
	s_cmp_lt_u32 s82, s66                                      // 0000000062F0: BF0A4252
	s_cselect_b32 s20, s36, s60                                // 0000000062F4: 85143C24
	v_readlane_b32 s82, v3, 1                                  // 0000000062F8: D2890052 00010303
	s_and_b32 s82, s82, 0xffffff                               // 000000006300: 8652FF52 00FFFFFF
	s_cmp_lt_u32 s82, s66                                      // 000000006308: BF0A4252
	s_cselect_b32 s21, s36, s60                                // 00000000630C: 85153C24
	s_mov_b64 exec, s[20:21]                                   // 000000006310: BEFE0114
	global_atomic_add_f32 v6, v56, s[8:9]                      // 000000006314: DD348000 00083806
	global_atomic_add_f32 v6, v60, s[8:9] offset:256           // 00000000631C: DD348100 00083C06
	s_mov_b64 exec, s[36:37]                                   // 000000006324: BEFE0124
	v_mov_b32_e32 v6, v47                                      // 000000006328: 7E0C032F
	s_mov_b64 s[60:61], 0                                      // 00000000632C: BEBC0180
	v_readlane_b32 s82, v3, 2                                  // 000000006330: D2890052 00010503
	s_and_b32 s82, s82, 0xffffff                               // 000000006338: 8652FF52 00FFFFFF
	s_cmp_lt_u32 s82, s66                                      // 000000006340: BF0A4252
	s_cselect_b32 s20, s36, s60                                // 000000006344: 85143C24
	v_readlane_b32 s82, v3, 3                                  // 000000006348: D2890052 00010703
	s_and_b32 s82, s82, 0xffffff                               // 000000006350: 8652FF52 00FFFFFF
	s_cmp_lt_u32 s82, s66                                      // 000000006358: BF0A4252
	s_cselect_b32 s21, s36, s60                                // 00000000635C: 85153C24
	s_mov_b64 exec, s[20:21]                                   // 000000006360: BEFE0114
	global_atomic_add_f32 v6, v57, s[8:9]                      // 000000006364: DD348000 00083906
	global_atomic_add_f32 v6, v61, s[8:9] offset:256           // 00000000636C: DD348100 00083D06
	s_mov_b64 exec, s[36:37]                                   // 000000006374: BEFE0124
	v_mov_b32_e32 v6, v48                                      // 000000006378: 7E0C0330
	s_mov_b64 s[60:61], 0                                      // 00000000637C: BEBC0180
	v_readlane_b32 s82, v3, 4                                  // 000000006380: D2890052 00010903
	s_and_b32 s82, s82, 0xffffff                               // 000000006388: 8652FF52 00FFFFFF
	s_cmp_lt_u32 s82, s66                                      // 000000006390: BF0A4252
	s_cselect_b32 s20, s36, s60                                // 000000006394: 85143C24
	v_readlane_b32 s82, v3, 5                                  // 000000006398: D2890052 00010B03
	s_and_b32 s82, s82, 0xffffff                               // 0000000063A0: 8652FF52 00FFFFFF
	s_cmp_lt_u32 s82, s66                                      // 0000000063A8: BF0A4252
	s_cselect_b32 s21, s36, s60                                // 0000000063AC: 85153C24
	s_mov_b64 exec, s[20:21]                                   // 0000000063B0: BEFE0114
	global_atomic_add_f32 v6, v64, s[8:9]                      // 0000000063B4: DD348000 00084006
	global_atomic_add_f32 v6, v68, s[8:9] offset:256           // 0000000063BC: DD348100 00084406
	s_mov_b64 exec, s[36:37]                                   // 0000000063C4: BEFE0124
	v_mov_b32_e32 v6, v49                                      // 0000000063C8: 7E0C0331
	s_mov_b64 s[60:61], 0                                      // 0000000063CC: BEBC0180
	v_readlane_b32 s82, v3, 6                                  // 0000000063D0: D2890052 00010D03
	s_and_b32 s82, s82, 0xffffff                               // 0000000063D8: 8652FF52 00FFFFFF
	s_cmp_lt_u32 s82, s66                                      // 0000000063E0: BF0A4252
	s_cselect_b32 s20, s36, s60                                // 0000000063E4: 85143C24
	v_readlane_b32 s82, v3, 7                                  // 0000000063E8: D2890052 00010F03
	s_and_b32 s82, s82, 0xffffff                               // 0000000063F0: 8652FF52 00FFFFFF
	s_cmp_lt_u32 s82, s66                                      // 0000000063F8: BF0A4252
	s_cselect_b32 s21, s36, s60                                // 0000000063FC: 85153C24
	s_mov_b64 exec, s[20:21]                                   // 000000006400: BEFE0114
	global_atomic_add_f32 v6, v65, s[8:9]                      // 000000006404: DD348000 00084106
	global_atomic_add_f32 v6, v69, s[8:9] offset:256           // 00000000640C: DD348100 00084506
	s_mov_b64 exec, s[36:37]                                   // 000000006414: BEFE0124
	v_mov_b32_e32 v6, v50                                      // 000000006418: 7E0C0332
	s_mov_b64 s[60:61], 0                                      // 00000000641C: BEBC0180
	v_readlane_b32 s82, v3, 8                                  // 000000006420: D2890052 00011103
	s_and_b32 s82, s82, 0xffffff                               // 000000006428: 8652FF52 00FFFFFF
	s_cmp_lt_u32 s82, s66                                      // 000000006430: BF0A4252
	s_cselect_b32 s20, s36, s60                                // 000000006434: 85143C24
	v_readlane_b32 s82, v3, 9                                  // 000000006438: D2890052 00011303
	s_and_b32 s82, s82, 0xffffff                               // 000000006440: 8652FF52 00FFFFFF
	s_cmp_lt_u32 s82, s66                                      // 000000006448: BF0A4252
	s_cselect_b32 s21, s36, s60                                // 00000000644C: 85153C24
	s_mov_b64 exec, s[20:21]                                   // 000000006450: BEFE0114
	global_atomic_add_f32 v6, v72, s[8:9]                      // 000000006454: DD348000 00084806
	global_atomic_add_f32 v6, v76, s[8:9] offset:256           // 00000000645C: DD348100 00084C06
	s_mov_b64 exec, s[36:37]                                   // 000000006464: BEFE0124
	v_mov_b32_e32 v6, v51                                      // 000000006468: 7E0C0333
	s_mov_b64 s[60:61], 0                                      // 00000000646C: BEBC0180
	v_readlane_b32 s82, v3, 10                                 // 000000006470: D2890052 00011503
	s_and_b32 s82, s82, 0xffffff                               // 000000006478: 8652FF52 00FFFFFF
	s_cmp_lt_u32 s82, s66                                      // 000000006480: BF0A4252
	s_cselect_b32 s20, s36, s60                                // 000000006484: 85143C24
	v_readlane_b32 s82, v3, 11                                 // 000000006488: D2890052 00011703
	s_and_b32 s82, s82, 0xffffff                               // 000000006490: 8652FF52 00FFFFFF
	s_cmp_lt_u32 s82, s66                                      // 000000006498: BF0A4252
	s_cselect_b32 s21, s36, s60                                // 00000000649C: 85153C24
	s_mov_b64 exec, s[20:21]                                   // 0000000064A0: BEFE0114
	global_atomic_add_f32 v6, v73, s[8:9]                      // 0000000064A4: DD348000 00084906
	global_atomic_add_f32 v6, v77, s[8:9] offset:256           // 0000000064AC: DD348100 00084D06
	s_mov_b64 exec, s[36:37]                                   // 0000000064B4: BEFE0124
	v_mov_b32_e32 v6, v52                                      // 0000000064B8: 7E0C0334
	s_mov_b64 s[60:61], 0                                      // 0000000064BC: BEBC0180
	v_readlane_b32 s82, v3, 12                                 // 0000000064C0: D2890052 00011903
	s_and_b32 s82, s82, 0xffffff                               // 0000000064C8: 8652FF52 00FFFFFF
	s_cmp_lt_u32 s82, s66                                      // 0000000064D0: BF0A4252
	s_cselect_b32 s20, s36, s60                                // 0000000064D4: 85143C24
	v_readlane_b32 s82, v3, 13                                 // 0000000064D8: D2890052 00011B03
	s_and_b32 s82, s82, 0xffffff                               // 0000000064E0: 8652FF52 00FFFFFF
	s_cmp_lt_u32 s82, s66                                      // 0000000064E8: BF0A4252
	s_cselect_b32 s21, s36, s60                                // 0000000064EC: 85153C24
	s_mov_b64 exec, s[20:21]                                   // 0000000064F0: BEFE0114
	global_atomic_add_f32 v6, v80, s[8:9]                      // 0000000064F4: DD348000 00085006
	global_atomic_add_f32 v6, v84, s[8:9] offset:256           // 0000000064FC: DD348100 00085406
	s_mov_b64 exec, s[36:37]                                   // 000000006504: BEFE0124
	v_mov_b32_e32 v6, v53                                      // 000000006508: 7E0C0335
	s_mov_b64 s[60:61], 0                                      // 00000000650C: BEBC0180
	v_readlane_b32 s82, v3, 14                                 // 000000006510: D2890052 00011D03
	s_and_b32 s82, s82, 0xffffff                               // 000000006518: 8652FF52 00FFFFFF
	s_cmp_lt_u32 s82, s66                                      // 000000006520: BF0A4252
	s_cselect_b32 s20, s36, s60                                // 000000006524: 85143C24
	v_readlane_b32 s82, v3, 15                                 // 000000006528: D2890052 00011F03
	s_and_b32 s82, s82, 0xffffff                               // 000000006530: 8652FF52 00FFFFFF
	s_cmp_lt_u32 s82, s66                                      // 000000006538: BF0A4252
	s_cselect_b32 s21, s36, s60                                // 00000000653C: 85153C24
	s_mov_b64 exec, s[20:21]                                   // 000000006540: BEFE0114
	global_atomic_add_f32 v6, v81, s[8:9]                      // 000000006544: DD348000 00085106
	global_atomic_add_f32 v6, v85, s[8:9] offset:256           // 00000000654C: DD348100 00085506
	s_mov_b64 exec, s[36:37]                                   // 000000006554: BEFE0124
	ds_write_b64 v20, v[58:59]                                 // 000000006558: D89A0000 00003A14
	ds_write_b64 v20, v[62:63] offset:4352                     // 000000006560: D89A1100 00003E14
	ds_write_b64 v20, v[66:67] offset:8704                     // 000000006568: D89A2200 00004214
	ds_write_b64 v20, v[70:71] offset:13056                    // 000000006570: D89A3300 00004614
	ds_write_b64 v20, v[74:75] offset:2176                     // 000000006578: D89A0880 00004A14
	ds_write_b64 v20, v[78:79] offset:6528                     // 000000006580: D89A1980 00004E14
	ds_write_b64 v20, v[82:83] offset:10880                    // 000000006588: D89A2A80 00005214
	ds_write_b64 v20, v[86:87] offset:15232                    // 000000006590: D89A3B80 00005614
	s_waitcnt lgkmcnt(0)                                       // 000000006598: BF8CC07F
	s_barrier                                                  // 00000000659C: BF8A0000
	ds_read_b32 v58, v21                                       // 0000000065A0: D86C0000 3A000015
	ds_read_b32 v59, v21 offset:64                             // 0000000065A8: D86C0040 3B000015
	ds_read_b32 v62, v21 offset:2176                           // 0000000065B0: D86C0880 3E000015
	ds_read_b32 v63, v21 offset:2240                           // 0000000065B8: D86C08C0 3F000015
	ds_read_b32 v66, v21 offset:4352                           // 0000000065C0: D86C1100 42000015
	ds_read_b32 v67, v21 offset:4416                           // 0000000065C8: D86C1140 43000015
	ds_read_b32 v70, v21 offset:6528                           // 0000000065D0: D86C1980 46000015
	ds_read_b32 v71, v21 offset:6592                           // 0000000065D8: D86C19C0 47000015
	ds_read_b32 v74, v21 offset:8704                           // 0000000065E0: D86C2200 4A000015
	ds_read_b32 v75, v21 offset:8768                           // 0000000065E8: D86C2240 4B000015
	ds_read_b32 v78, v21 offset:10880                          // 0000000065F0: D86C2A80 4E000015
	ds_read_b32 v79, v21 offset:10944                          // 0000000065F8: D86C2AC0 4F000015
	ds_read_b32 v82, v21 offset:13056                          // 000000006600: D86C3300 52000015
	ds_read_b32 v83, v21 offset:13120                          // 000000006608: D86C3340 53000015
	ds_read_b32 v86, v21 offset:15232                          // 000000006610: D86C3B80 56000015
	ds_read_b32 v87, v21 offset:15296                          // 000000006618: D86C3BC0 57000015
	s_waitcnt lgkmcnt(0)                                       // 000000006620: BF8CC07F
	v_mov_b32_e32 v7, 0                                        // 000000006624: 7E0E0280
	s_mov_b64 exec, s[36:37]                                   // 000000006628: BEFE0124
	v_mov_b32_e32 v6, v46                                      // 00000000662C: 7E0C032E
	s_mov_b64 s[60:61], 0                                      // 000000006630: BEBC0180
	v_readlane_b32 s82, v3, 0                                  // 000000006634: D2890052 00010103
	s_and_b32 s82, s82, 0xffffff                               // 00000000663C: 8652FF52 00FFFFFF
	s_cmp_lt_u32 s82, s66                                      // 000000006644: BF0A4252
	s_cselect_b32 s20, s36, s60                                // 000000006648: 85143C24
	v_readlane_b32 s82, v3, 1                                  // 00000000664C: D2890052 00010303
	s_and_b32 s82, s82, 0xffffff                               // 000000006654: 8652FF52 00FFFFFF
	s_cmp_lt_u32 s82, s66                                      // 00000000665C: BF0A4252
	s_cselect_b32 s21, s36, s60                                // 000000006660: 85153C24
	s_mov_b64 exec, s[20:21]                                   // 000000006664: BEFE0114
	global_atomic_add_f32 v6, v58, s[8:9] offset:8             // 000000006668: DD348008 00083A06
	global_atomic_add_f32 v6, v62, s[8:9] offset:264           // 000000006670: DD348108 00083E06
	s_mov_b64 exec, s[36:37]                                   // 000000006678: BEFE0124
	v_mov_b32_e32 v6, v47                                      // 00000000667C: 7E0C032F
	s_mov_b64 s[60:61], 0                                      // 000000006680: BEBC0180
	v_readlane_b32 s82, v3, 2                                  // 000000006684: D2890052 00010503
	s_and_b32 s82, s82, 0xffffff                               // 00000000668C: 8652FF52 00FFFFFF
	s_cmp_lt_u32 s82, s66                                      // 000000006694: BF0A4252
	s_cselect_b32 s20, s36, s60                                // 000000006698: 85143C24
	v_readlane_b32 s82, v3, 3                                  // 00000000669C: D2890052 00010703
	s_and_b32 s82, s82, 0xffffff                               // 0000000066A4: 8652FF52 00FFFFFF
	s_cmp_lt_u32 s82, s66                                      // 0000000066AC: BF0A4252
	s_cselect_b32 s21, s36, s60                                // 0000000066B0: 85153C24
	s_mov_b64 exec, s[20:21]                                   // 0000000066B4: BEFE0114
	global_atomic_add_f32 v6, v59, s[8:9] offset:8             // 0000000066B8: DD348008 00083B06
	global_atomic_add_f32 v6, v63, s[8:9] offset:264           // 0000000066C0: DD348108 00083F06
	s_mov_b64 exec, s[36:37]                                   // 0000000066C8: BEFE0124
	v_mov_b32_e32 v6, v48                                      // 0000000066CC: 7E0C0330
	s_mov_b64 s[60:61], 0                                      // 0000000066D0: BEBC0180
	v_readlane_b32 s82, v3, 4                                  // 0000000066D4: D2890052 00010903
	s_and_b32 s82, s82, 0xffffff                               // 0000000066DC: 8652FF52 00FFFFFF
	s_cmp_lt_u32 s82, s66                                      // 0000000066E4: BF0A4252
	s_cselect_b32 s20, s36, s60                                // 0000000066E8: 85143C24
	v_readlane_b32 s82, v3, 5                                  // 0000000066EC: D2890052 00010B03
	s_and_b32 s82, s82, 0xffffff                               // 0000000066F4: 8652FF52 00FFFFFF
	s_cmp_lt_u32 s82, s66                                      // 0000000066FC: BF0A4252
	s_cselect_b32 s21, s36, s60                                // 000000006700: 85153C24
	s_mov_b64 exec, s[20:21]                                   // 000000006704: BEFE0114
	global_atomic_add_f32 v6, v66, s[8:9] offset:8             // 000000006708: DD348008 00084206
	global_atomic_add_f32 v6, v70, s[8:9] offset:264           // 000000006710: DD348108 00084606
	s_mov_b64 exec, s[36:37]                                   // 000000006718: BEFE0124
	v_mov_b32_e32 v6, v49                                      // 00000000671C: 7E0C0331
	s_mov_b64 s[60:61], 0                                      // 000000006720: BEBC0180
	v_readlane_b32 s82, v3, 6                                  // 000000006724: D2890052 00010D03
	s_and_b32 s82, s82, 0xffffff                               // 00000000672C: 8652FF52 00FFFFFF
	s_cmp_lt_u32 s82, s66                                      // 000000006734: BF0A4252
	s_cselect_b32 s20, s36, s60                                // 000000006738: 85143C24
	v_readlane_b32 s82, v3, 7                                  // 00000000673C: D2890052 00010F03
	s_and_b32 s82, s82, 0xffffff                               // 000000006744: 8652FF52 00FFFFFF
	s_cmp_lt_u32 s82, s66                                      // 00000000674C: BF0A4252
	s_cselect_b32 s21, s36, s60                                // 000000006750: 85153C24
	s_mov_b64 exec, s[20:21]                                   // 000000006754: BEFE0114
	global_atomic_add_f32 v6, v67, s[8:9] offset:8             // 000000006758: DD348008 00084306
	global_atomic_add_f32 v6, v71, s[8:9] offset:264           // 000000006760: DD348108 00084706
	s_mov_b64 exec, s[36:37]                                   // 000000006768: BEFE0124
	v_mov_b32_e32 v6, v50                                      // 00000000676C: 7E0C0332
	s_mov_b64 s[60:61], 0                                      // 000000006770: BEBC0180
	v_readlane_b32 s82, v3, 8                                  // 000000006774: D2890052 00011103
	s_and_b32 s82, s82, 0xffffff                               // 00000000677C: 8652FF52 00FFFFFF
	s_cmp_lt_u32 s82, s66                                      // 000000006784: BF0A4252
	s_cselect_b32 s20, s36, s60                                // 000000006788: 85143C24
	v_readlane_b32 s82, v3, 9                                  // 00000000678C: D2890052 00011303
	s_and_b32 s82, s82, 0xffffff                               // 000000006794: 8652FF52 00FFFFFF
	s_cmp_lt_u32 s82, s66                                      // 00000000679C: BF0A4252
	s_cselect_b32 s21, s36, s60                                // 0000000067A0: 85153C24
	s_mov_b64 exec, s[20:21]                                   // 0000000067A4: BEFE0114
	global_atomic_add_f32 v6, v74, s[8:9] offset:8             // 0000000067A8: DD348008 00084A06
	global_atomic_add_f32 v6, v78, s[8:9] offset:264           // 0000000067B0: DD348108 00084E06
	s_mov_b64 exec, s[36:37]                                   // 0000000067B8: BEFE0124
	v_mov_b32_e32 v6, v51                                      // 0000000067BC: 7E0C0333
	s_mov_b64 s[60:61], 0                                      // 0000000067C0: BEBC0180
	v_readlane_b32 s82, v3, 10                                 // 0000000067C4: D2890052 00011503
	s_and_b32 s82, s82, 0xffffff                               // 0000000067CC: 8652FF52 00FFFFFF
	s_cmp_lt_u32 s82, s66                                      // 0000000067D4: BF0A4252
	s_cselect_b32 s20, s36, s60                                // 0000000067D8: 85143C24
	v_readlane_b32 s82, v3, 11                                 // 0000000067DC: D2890052 00011703
	s_and_b32 s82, s82, 0xffffff                               // 0000000067E4: 8652FF52 00FFFFFF
	s_cmp_lt_u32 s82, s66                                      // 0000000067EC: BF0A4252
	s_cselect_b32 s21, s36, s60                                // 0000000067F0: 85153C24
	s_mov_b64 exec, s[20:21]                                   // 0000000067F4: BEFE0114
	global_atomic_add_f32 v6, v75, s[8:9] offset:8             // 0000000067F8: DD348008 00084B06
	global_atomic_add_f32 v6, v79, s[8:9] offset:264           // 000000006800: DD348108 00084F06
	s_mov_b64 exec, s[36:37]                                   // 000000006808: BEFE0124
	v_mov_b32_e32 v6, v52                                      // 00000000680C: 7E0C0334
	s_mov_b64 s[60:61], 0                                      // 000000006810: BEBC0180
	v_readlane_b32 s82, v3, 12                                 // 000000006814: D2890052 00011903
	s_and_b32 s82, s82, 0xffffff                               // 00000000681C: 8652FF52 00FFFFFF
	s_cmp_lt_u32 s82, s66                                      // 000000006824: BF0A4252
	s_cselect_b32 s20, s36, s60                                // 000000006828: 85143C24
	v_readlane_b32 s82, v3, 13                                 // 00000000682C: D2890052 00011B03
	s_and_b32 s82, s82, 0xffffff                               // 000000006834: 8652FF52 00FFFFFF
	s_cmp_lt_u32 s82, s66                                      // 00000000683C: BF0A4252
	s_cselect_b32 s21, s36, s60                                // 000000006840: 85153C24
	s_mov_b64 exec, s[20:21]                                   // 000000006844: BEFE0114
	global_atomic_add_f32 v6, v82, s[8:9] offset:8             // 000000006848: DD348008 00085206
	global_atomic_add_f32 v6, v86, s[8:9] offset:264           // 000000006850: DD348108 00085606
	s_mov_b64 exec, s[36:37]                                   // 000000006858: BEFE0124
	v_mov_b32_e32 v6, v53                                      // 00000000685C: 7E0C0335
	s_mov_b64 s[60:61], 0                                      // 000000006860: BEBC0180
	v_readlane_b32 s82, v3, 14                                 // 000000006864: D2890052 00011D03
	s_and_b32 s82, s82, 0xffffff                               // 00000000686C: 8652FF52 00FFFFFF
	s_cmp_lt_u32 s82, s66                                      // 000000006874: BF0A4252
	s_cselect_b32 s20, s36, s60                                // 000000006878: 85143C24
	v_readlane_b32 s82, v3, 15                                 // 00000000687C: D2890052 00011F03
	s_and_b32 s82, s82, 0xffffff                               // 000000006884: 8652FF52 00FFFFFF
	s_cmp_lt_u32 s82, s66                                      // 00000000688C: BF0A4252
	s_cselect_b32 s21, s36, s60                                // 000000006890: 85153C24
	s_mov_b64 exec, s[20:21]                                   // 000000006894: BEFE0114
	global_atomic_add_f32 v6, v83, s[8:9] offset:8             // 000000006898: DD348008 00085306
	global_atomic_add_f32 v6, v87, s[8:9] offset:264           // 0000000068A0: DD348108 00085706
	s_mov_b64 exec, s[36:37]                                   // 0000000068A8: BEFE0124
	ds_write_b64 v20, v[88:89]                                 // 0000000068AC: D89A0000 00005814
	ds_write_b64 v20, v[92:93] offset:4352                     // 0000000068B4: D89A1100 00005C14
	ds_write_b64 v20, v[96:97] offset:8704                     // 0000000068BC: D89A2200 00006014
	ds_write_b64 v20, v[100:101] offset:13056                  // 0000000068C4: D89A3300 00006414
	ds_write_b64 v20, v[104:105] offset:2176                   // 0000000068CC: D89A0880 00006814
	ds_write_b64 v20, v[108:109] offset:6528                   // 0000000068D4: D89A1980 00006C14
	ds_write_b64 v20, v[112:113] offset:10880                  // 0000000068DC: D89A2A80 00007014
	ds_write_b64 v20, v[116:117] offset:15232                  // 0000000068E4: D89A3B80 00007414
	s_waitcnt lgkmcnt(0)                                       // 0000000068EC: BF8CC07F
	s_barrier                                                  // 0000000068F0: BF8A0000
	ds_read_b32 v88, v21                                       // 0000000068F4: D86C0000 58000015
	ds_read_b32 v89, v21 offset:64                             // 0000000068FC: D86C0040 59000015
	ds_read_b32 v92, v21 offset:2176                           // 000000006904: D86C0880 5C000015
	ds_read_b32 v93, v21 offset:2240                           // 00000000690C: D86C08C0 5D000015
	ds_read_b32 v96, v21 offset:4352                           // 000000006914: D86C1100 60000015
	ds_read_b32 v97, v21 offset:4416                           // 00000000691C: D86C1140 61000015
	ds_read_b32 v100, v21 offset:6528                          // 000000006924: D86C1980 64000015
	ds_read_b32 v101, v21 offset:6592                          // 00000000692C: D86C19C0 65000015
	ds_read_b32 v104, v21 offset:8704                          // 000000006934: D86C2200 68000015
	ds_read_b32 v105, v21 offset:8768                          // 00000000693C: D86C2240 69000015
	ds_read_b32 v108, v21 offset:10880                         // 000000006944: D86C2A80 6C000015
	ds_read_b32 v109, v21 offset:10944                         // 00000000694C: D86C2AC0 6D000015
	ds_read_b32 v112, v21 offset:13056                         // 000000006954: D86C3300 70000015
	ds_read_b32 v113, v21 offset:13120                         // 00000000695C: D86C3340 71000015
	ds_read_b32 v116, v21 offset:15232                         // 000000006964: D86C3B80 74000015
	ds_read_b32 v117, v21 offset:15296                         // 00000000696C: D86C3BC0 75000015
	s_mul_i32 s60, s65, 4                                      // 000000006974: 923C8441
	s_add_u32 s8, s60, s8                                      // 000000006978: 8008083C
	s_addc_u32 s9, 0, s9                                       // 00000000697C: 82090980
	s_waitcnt lgkmcnt(0)                                       // 000000006980: BF8CC07F
	v_mov_b32_e32 v7, 0                                        // 000000006984: 7E0E0280
	s_mov_b64 exec, s[36:37]                                   // 000000006988: BEFE0124
	v_mov_b32_e32 v6, v46                                      // 00000000698C: 7E0C032E
	s_mov_b64 s[60:61], 0                                      // 000000006990: BEBC0180
	v_readlane_b32 s82, v3, 0                                  // 000000006994: D2890052 00010103
	s_and_b32 s82, s82, 0xffffff                               // 00000000699C: 8652FF52 00FFFFFF
	s_cmp_lt_u32 s82, s66                                      // 0000000069A4: BF0A4252
	s_cselect_b32 s20, s36, s60                                // 0000000069A8: 85143C24
	v_readlane_b32 s82, v3, 1                                  // 0000000069AC: D2890052 00010303
	s_and_b32 s82, s82, 0xffffff                               // 0000000069B4: 8652FF52 00FFFFFF
	s_cmp_lt_u32 s82, s66                                      // 0000000069BC: BF0A4252
	s_cselect_b32 s21, s36, s60                                // 0000000069C0: 85153C24
	s_mov_b64 exec, s[20:21]                                   // 0000000069C4: BEFE0114
	global_atomic_add_f32 v6, v88, s[8:9]                      // 0000000069C8: DD348000 00085806
	global_atomic_add_f32 v6, v92, s[8:9] offset:256           // 0000000069D0: DD348100 00085C06
	s_mov_b64 exec, s[36:37]                                   // 0000000069D8: BEFE0124
	v_mov_b32_e32 v6, v47                                      // 0000000069DC: 7E0C032F
	s_mov_b64 s[60:61], 0                                      // 0000000069E0: BEBC0180
	v_readlane_b32 s82, v3, 2                                  // 0000000069E4: D2890052 00010503
	s_and_b32 s82, s82, 0xffffff                               // 0000000069EC: 8652FF52 00FFFFFF
	s_cmp_lt_u32 s82, s66                                      // 0000000069F4: BF0A4252
	s_cselect_b32 s20, s36, s60                                // 0000000069F8: 85143C24
	v_readlane_b32 s82, v3, 3                                  // 0000000069FC: D2890052 00010703
	s_and_b32 s82, s82, 0xffffff                               // 000000006A04: 8652FF52 00FFFFFF
	s_cmp_lt_u32 s82, s66                                      // 000000006A0C: BF0A4252
	s_cselect_b32 s21, s36, s60                                // 000000006A10: 85153C24
	s_mov_b64 exec, s[20:21]                                   // 000000006A14: BEFE0114
	global_atomic_add_f32 v6, v89, s[8:9]                      // 000000006A18: DD348000 00085906
	global_atomic_add_f32 v6, v93, s[8:9] offset:256           // 000000006A20: DD348100 00085D06
	s_mov_b64 exec, s[36:37]                                   // 000000006A28: BEFE0124
	v_mov_b32_e32 v6, v48                                      // 000000006A2C: 7E0C0330
	s_mov_b64 s[60:61], 0                                      // 000000006A30: BEBC0180
	v_readlane_b32 s82, v3, 4                                  // 000000006A34: D2890052 00010903
	s_and_b32 s82, s82, 0xffffff                               // 000000006A3C: 8652FF52 00FFFFFF
	s_cmp_lt_u32 s82, s66                                      // 000000006A44: BF0A4252
	s_cselect_b32 s20, s36, s60                                // 000000006A48: 85143C24
	v_readlane_b32 s82, v3, 5                                  // 000000006A4C: D2890052 00010B03
	s_and_b32 s82, s82, 0xffffff                               // 000000006A54: 8652FF52 00FFFFFF
	s_cmp_lt_u32 s82, s66                                      // 000000006A5C: BF0A4252
	s_cselect_b32 s21, s36, s60                                // 000000006A60: 85153C24
	s_mov_b64 exec, s[20:21]                                   // 000000006A64: BEFE0114
	global_atomic_add_f32 v6, v96, s[8:9]                      // 000000006A68: DD348000 00086006
	global_atomic_add_f32 v6, v100, s[8:9] offset:256          // 000000006A70: DD348100 00086406
	s_mov_b64 exec, s[36:37]                                   // 000000006A78: BEFE0124
	v_mov_b32_e32 v6, v49                                      // 000000006A7C: 7E0C0331
	s_mov_b64 s[60:61], 0                                      // 000000006A80: BEBC0180
	v_readlane_b32 s82, v3, 6                                  // 000000006A84: D2890052 00010D03
	s_and_b32 s82, s82, 0xffffff                               // 000000006A8C: 8652FF52 00FFFFFF
	s_cmp_lt_u32 s82, s66                                      // 000000006A94: BF0A4252
	s_cselect_b32 s20, s36, s60                                // 000000006A98: 85143C24
	v_readlane_b32 s82, v3, 7                                  // 000000006A9C: D2890052 00010F03
	s_and_b32 s82, s82, 0xffffff                               // 000000006AA4: 8652FF52 00FFFFFF
	s_cmp_lt_u32 s82, s66                                      // 000000006AAC: BF0A4252
	s_cselect_b32 s21, s36, s60                                // 000000006AB0: 85153C24
	s_mov_b64 exec, s[20:21]                                   // 000000006AB4: BEFE0114
	global_atomic_add_f32 v6, v97, s[8:9]                      // 000000006AB8: DD348000 00086106
	global_atomic_add_f32 v6, v101, s[8:9] offset:256          // 000000006AC0: DD348100 00086506
	s_mov_b64 exec, s[36:37]                                   // 000000006AC8: BEFE0124
	v_mov_b32_e32 v6, v50                                      // 000000006ACC: 7E0C0332
	s_mov_b64 s[60:61], 0                                      // 000000006AD0: BEBC0180
	v_readlane_b32 s82, v3, 8                                  // 000000006AD4: D2890052 00011103
	s_and_b32 s82, s82, 0xffffff                               // 000000006ADC: 8652FF52 00FFFFFF
	s_cmp_lt_u32 s82, s66                                      // 000000006AE4: BF0A4252
	s_cselect_b32 s20, s36, s60                                // 000000006AE8: 85143C24
	v_readlane_b32 s82, v3, 9                                  // 000000006AEC: D2890052 00011303
	s_and_b32 s82, s82, 0xffffff                               // 000000006AF4: 8652FF52 00FFFFFF
	s_cmp_lt_u32 s82, s66                                      // 000000006AFC: BF0A4252
	s_cselect_b32 s21, s36, s60                                // 000000006B00: 85153C24
	s_mov_b64 exec, s[20:21]                                   // 000000006B04: BEFE0114
	global_atomic_add_f32 v6, v104, s[8:9]                     // 000000006B08: DD348000 00086806
	global_atomic_add_f32 v6, v108, s[8:9] offset:256          // 000000006B10: DD348100 00086C06
	s_mov_b64 exec, s[36:37]                                   // 000000006B18: BEFE0124
	v_mov_b32_e32 v6, v51                                      // 000000006B1C: 7E0C0333
	s_mov_b64 s[60:61], 0                                      // 000000006B20: BEBC0180
	v_readlane_b32 s82, v3, 10                                 // 000000006B24: D2890052 00011503
	s_and_b32 s82, s82, 0xffffff                               // 000000006B2C: 8652FF52 00FFFFFF
	s_cmp_lt_u32 s82, s66                                      // 000000006B34: BF0A4252
	s_cselect_b32 s20, s36, s60                                // 000000006B38: 85143C24
	v_readlane_b32 s82, v3, 11                                 // 000000006B3C: D2890052 00011703
	s_and_b32 s82, s82, 0xffffff                               // 000000006B44: 8652FF52 00FFFFFF
	s_cmp_lt_u32 s82, s66                                      // 000000006B4C: BF0A4252
	s_cselect_b32 s21, s36, s60                                // 000000006B50: 85153C24
	s_mov_b64 exec, s[20:21]                                   // 000000006B54: BEFE0114
	global_atomic_add_f32 v6, v105, s[8:9]                     // 000000006B58: DD348000 00086906
	global_atomic_add_f32 v6, v109, s[8:9] offset:256          // 000000006B60: DD348100 00086D06
	s_mov_b64 exec, s[36:37]                                   // 000000006B68: BEFE0124
	v_mov_b32_e32 v6, v52                                      // 000000006B6C: 7E0C0334
	s_mov_b64 s[60:61], 0                                      // 000000006B70: BEBC0180
	v_readlane_b32 s82, v3, 12                                 // 000000006B74: D2890052 00011903
	s_and_b32 s82, s82, 0xffffff                               // 000000006B7C: 8652FF52 00FFFFFF
	s_cmp_lt_u32 s82, s66                                      // 000000006B84: BF0A4252
	s_cselect_b32 s20, s36, s60                                // 000000006B88: 85143C24
	v_readlane_b32 s82, v3, 13                                 // 000000006B8C: D2890052 00011B03
	s_and_b32 s82, s82, 0xffffff                               // 000000006B94: 8652FF52 00FFFFFF
	s_cmp_lt_u32 s82, s66                                      // 000000006B9C: BF0A4252
	s_cselect_b32 s21, s36, s60                                // 000000006BA0: 85153C24
	s_mov_b64 exec, s[20:21]                                   // 000000006BA4: BEFE0114
	global_atomic_add_f32 v6, v112, s[8:9]                     // 000000006BA8: DD348000 00087006
	global_atomic_add_f32 v6, v116, s[8:9] offset:256          // 000000006BB0: DD348100 00087406
	s_mov_b64 exec, s[36:37]                                   // 000000006BB8: BEFE0124
	v_mov_b32_e32 v6, v53                                      // 000000006BBC: 7E0C0335
	s_mov_b64 s[60:61], 0                                      // 000000006BC0: BEBC0180
	v_readlane_b32 s82, v3, 14                                 // 000000006BC4: D2890052 00011D03
	s_and_b32 s82, s82, 0xffffff                               // 000000006BCC: 8652FF52 00FFFFFF
	s_cmp_lt_u32 s82, s66                                      // 000000006BD4: BF0A4252
	s_cselect_b32 s20, s36, s60                                // 000000006BD8: 85143C24
	v_readlane_b32 s82, v3, 15                                 // 000000006BDC: D2890052 00011F03
	s_and_b32 s82, s82, 0xffffff                               // 000000006BE4: 8652FF52 00FFFFFF
	s_cmp_lt_u32 s82, s66                                      // 000000006BEC: BF0A4252
	s_cselect_b32 s21, s36, s60                                // 000000006BF0: 85153C24
	s_mov_b64 exec, s[20:21]                                   // 000000006BF4: BEFE0114
	global_atomic_add_f32 v6, v113, s[8:9]                     // 000000006BF8: DD348000 00087106
	global_atomic_add_f32 v6, v117, s[8:9] offset:256          // 000000006C00: DD348100 00087506
	s_mov_b64 exec, s[36:37]                                   // 000000006C08: BEFE0124
	ds_write_b64 v20, v[90:91]                                 // 000000006C0C: D89A0000 00005A14
	ds_write_b64 v20, v[94:95] offset:4352                     // 000000006C14: D89A1100 00005E14
	ds_write_b64 v20, v[98:99] offset:8704                     // 000000006C1C: D89A2200 00006214
	ds_write_b64 v20, v[102:103] offset:13056                  // 000000006C24: D89A3300 00006614
	ds_write_b64 v20, v[106:107] offset:2176                   // 000000006C2C: D89A0880 00006A14
	ds_write_b64 v20, v[110:111] offset:6528                   // 000000006C34: D89A1980 00006E14
	ds_write_b64 v20, v[114:115] offset:10880                  // 000000006C3C: D89A2A80 00007214
	ds_write_b64 v20, v[118:119] offset:15232                  // 000000006C44: D89A3B80 00007614
	s_waitcnt lgkmcnt(0)                                       // 000000006C4C: BF8CC07F
	s_barrier                                                  // 000000006C50: BF8A0000
	ds_read_b32 v90, v21                                       // 000000006C54: D86C0000 5A000015
	ds_read_b32 v91, v21 offset:64                             // 000000006C5C: D86C0040 5B000015
	ds_read_b32 v94, v21 offset:2176                           // 000000006C64: D86C0880 5E000015
	ds_read_b32 v95, v21 offset:2240                           // 000000006C6C: D86C08C0 5F000015
	ds_read_b32 v98, v21 offset:4352                           // 000000006C74: D86C1100 62000015
	ds_read_b32 v99, v21 offset:4416                           // 000000006C7C: D86C1140 63000015
	ds_read_b32 v102, v21 offset:6528                          // 000000006C84: D86C1980 66000015
	ds_read_b32 v103, v21 offset:6592                          // 000000006C8C: D86C19C0 67000015
	ds_read_b32 v106, v21 offset:8704                          // 000000006C94: D86C2200 6A000015
	ds_read_b32 v107, v21 offset:8768                          // 000000006C9C: D86C2240 6B000015
	ds_read_b32 v110, v21 offset:10880                         // 000000006CA4: D86C2A80 6E000015
	ds_read_b32 v111, v21 offset:10944                         // 000000006CAC: D86C2AC0 6F000015
	ds_read_b32 v114, v21 offset:13056                         // 000000006CB4: D86C3300 72000015
	ds_read_b32 v115, v21 offset:13120                         // 000000006CBC: D86C3340 73000015
	ds_read_b32 v118, v21 offset:15232                         // 000000006CC4: D86C3B80 76000015
	ds_read_b32 v119, v21 offset:15296                         // 000000006CCC: D86C3BC0 77000015
	s_waitcnt lgkmcnt(0)                                       // 000000006CD4: BF8CC07F
	v_mov_b32_e32 v7, 0                                        // 000000006CD8: 7E0E0280
	s_mov_b64 exec, s[36:37]                                   // 000000006CDC: BEFE0124
	v_mov_b32_e32 v6, v46                                      // 000000006CE0: 7E0C032E
	s_mov_b64 s[60:61], 0                                      // 000000006CE4: BEBC0180
	v_readlane_b32 s82, v3, 0                                  // 000000006CE8: D2890052 00010103
	s_and_b32 s82, s82, 0xffffff                               // 000000006CF0: 8652FF52 00FFFFFF
	s_cmp_lt_u32 s82, s66                                      // 000000006CF8: BF0A4252
	s_cselect_b32 s20, s36, s60                                // 000000006CFC: 85143C24
	v_readlane_b32 s82, v3, 1                                  // 000000006D00: D2890052 00010303
	s_and_b32 s82, s82, 0xffffff                               // 000000006D08: 8652FF52 00FFFFFF
	s_cmp_lt_u32 s82, s66                                      // 000000006D10: BF0A4252
	s_cselect_b32 s21, s36, s60                                // 000000006D14: 85153C24
	s_mov_b64 exec, s[20:21]                                   // 000000006D18: BEFE0114
	global_atomic_add_f32 v6, v90, s[8:9] offset:8             // 000000006D1C: DD348008 00085A06
	global_atomic_add_f32 v6, v94, s[8:9] offset:264           // 000000006D24: DD348108 00085E06
	s_mov_b64 exec, s[36:37]                                   // 000000006D2C: BEFE0124
	v_mov_b32_e32 v6, v47                                      // 000000006D30: 7E0C032F
	s_mov_b64 s[60:61], 0                                      // 000000006D34: BEBC0180
	v_readlane_b32 s82, v3, 2                                  // 000000006D38: D2890052 00010503
	s_and_b32 s82, s82, 0xffffff                               // 000000006D40: 8652FF52 00FFFFFF
	s_cmp_lt_u32 s82, s66                                      // 000000006D48: BF0A4252
	s_cselect_b32 s20, s36, s60                                // 000000006D4C: 85143C24
	v_readlane_b32 s82, v3, 3                                  // 000000006D50: D2890052 00010703
	s_and_b32 s82, s82, 0xffffff                               // 000000006D58: 8652FF52 00FFFFFF
	s_cmp_lt_u32 s82, s66                                      // 000000006D60: BF0A4252
	s_cselect_b32 s21, s36, s60                                // 000000006D64: 85153C24
	s_mov_b64 exec, s[20:21]                                   // 000000006D68: BEFE0114
	global_atomic_add_f32 v6, v91, s[8:9] offset:8             // 000000006D6C: DD348008 00085B06
	global_atomic_add_f32 v6, v95, s[8:9] offset:264           // 000000006D74: DD348108 00085F06
	s_mov_b64 exec, s[36:37]                                   // 000000006D7C: BEFE0124
	v_mov_b32_e32 v6, v48                                      // 000000006D80: 7E0C0330
	s_mov_b64 s[60:61], 0                                      // 000000006D84: BEBC0180
	v_readlane_b32 s82, v3, 4                                  // 000000006D88: D2890052 00010903
	s_and_b32 s82, s82, 0xffffff                               // 000000006D90: 8652FF52 00FFFFFF
	s_cmp_lt_u32 s82, s66                                      // 000000006D98: BF0A4252
	s_cselect_b32 s20, s36, s60                                // 000000006D9C: 85143C24
	v_readlane_b32 s82, v3, 5                                  // 000000006DA0: D2890052 00010B03
	s_and_b32 s82, s82, 0xffffff                               // 000000006DA8: 8652FF52 00FFFFFF
	s_cmp_lt_u32 s82, s66                                      // 000000006DB0: BF0A4252
	s_cselect_b32 s21, s36, s60                                // 000000006DB4: 85153C24
	s_mov_b64 exec, s[20:21]                                   // 000000006DB8: BEFE0114
	global_atomic_add_f32 v6, v98, s[8:9] offset:8             // 000000006DBC: DD348008 00086206
	global_atomic_add_f32 v6, v102, s[8:9] offset:264          // 000000006DC4: DD348108 00086606
	s_mov_b64 exec, s[36:37]                                   // 000000006DCC: BEFE0124
	v_mov_b32_e32 v6, v49                                      // 000000006DD0: 7E0C0331
	s_mov_b64 s[60:61], 0                                      // 000000006DD4: BEBC0180
	v_readlane_b32 s82, v3, 6                                  // 000000006DD8: D2890052 00010D03
	s_and_b32 s82, s82, 0xffffff                               // 000000006DE0: 8652FF52 00FFFFFF
	s_cmp_lt_u32 s82, s66                                      // 000000006DE8: BF0A4252
	s_cselect_b32 s20, s36, s60                                // 000000006DEC: 85143C24
	v_readlane_b32 s82, v3, 7                                  // 000000006DF0: D2890052 00010F03
	s_and_b32 s82, s82, 0xffffff                               // 000000006DF8: 8652FF52 00FFFFFF
	s_cmp_lt_u32 s82, s66                                      // 000000006E00: BF0A4252
	s_cselect_b32 s21, s36, s60                                // 000000006E04: 85153C24
	s_mov_b64 exec, s[20:21]                                   // 000000006E08: BEFE0114
	global_atomic_add_f32 v6, v99, s[8:9] offset:8             // 000000006E0C: DD348008 00086306
	global_atomic_add_f32 v6, v103, s[8:9] offset:264          // 000000006E14: DD348108 00086706
	s_mov_b64 exec, s[36:37]                                   // 000000006E1C: BEFE0124
	v_mov_b32_e32 v6, v50                                      // 000000006E20: 7E0C0332
	s_mov_b64 s[60:61], 0                                      // 000000006E24: BEBC0180
	v_readlane_b32 s82, v3, 8                                  // 000000006E28: D2890052 00011103
	s_and_b32 s82, s82, 0xffffff                               // 000000006E30: 8652FF52 00FFFFFF
	s_cmp_lt_u32 s82, s66                                      // 000000006E38: BF0A4252
	s_cselect_b32 s20, s36, s60                                // 000000006E3C: 85143C24
	v_readlane_b32 s82, v3, 9                                  // 000000006E40: D2890052 00011303
	s_and_b32 s82, s82, 0xffffff                               // 000000006E48: 8652FF52 00FFFFFF
	s_cmp_lt_u32 s82, s66                                      // 000000006E50: BF0A4252
	s_cselect_b32 s21, s36, s60                                // 000000006E54: 85153C24
	s_mov_b64 exec, s[20:21]                                   // 000000006E58: BEFE0114
	global_atomic_add_f32 v6, v106, s[8:9] offset:8            // 000000006E5C: DD348008 00086A06
	global_atomic_add_f32 v6, v110, s[8:9] offset:264          // 000000006E64: DD348108 00086E06
	s_mov_b64 exec, s[36:37]                                   // 000000006E6C: BEFE0124
	v_mov_b32_e32 v6, v51                                      // 000000006E70: 7E0C0333
	s_mov_b64 s[60:61], 0                                      // 000000006E74: BEBC0180
	v_readlane_b32 s82, v3, 10                                 // 000000006E78: D2890052 00011503
	s_and_b32 s82, s82, 0xffffff                               // 000000006E80: 8652FF52 00FFFFFF
	s_cmp_lt_u32 s82, s66                                      // 000000006E88: BF0A4252
	s_cselect_b32 s20, s36, s60                                // 000000006E8C: 85143C24
	v_readlane_b32 s82, v3, 11                                 // 000000006E90: D2890052 00011703
	s_and_b32 s82, s82, 0xffffff                               // 000000006E98: 8652FF52 00FFFFFF
	s_cmp_lt_u32 s82, s66                                      // 000000006EA0: BF0A4252
	s_cselect_b32 s21, s36, s60                                // 000000006EA4: 85153C24
	s_mov_b64 exec, s[20:21]                                   // 000000006EA8: BEFE0114
	global_atomic_add_f32 v6, v107, s[8:9] offset:8            // 000000006EAC: DD348008 00086B06
	global_atomic_add_f32 v6, v111, s[8:9] offset:264          // 000000006EB4: DD348108 00086F06
	s_mov_b64 exec, s[36:37]                                   // 000000006EBC: BEFE0124
	v_mov_b32_e32 v6, v52                                      // 000000006EC0: 7E0C0334
	s_mov_b64 s[60:61], 0                                      // 000000006EC4: BEBC0180
	v_readlane_b32 s82, v3, 12                                 // 000000006EC8: D2890052 00011903
	s_and_b32 s82, s82, 0xffffff                               // 000000006ED0: 8652FF52 00FFFFFF
	s_cmp_lt_u32 s82, s66                                      // 000000006ED8: BF0A4252
	s_cselect_b32 s20, s36, s60                                // 000000006EDC: 85143C24
	v_readlane_b32 s82, v3, 13                                 // 000000006EE0: D2890052 00011B03
	s_and_b32 s82, s82, 0xffffff                               // 000000006EE8: 8652FF52 00FFFFFF
	s_cmp_lt_u32 s82, s66                                      // 000000006EF0: BF0A4252
	s_cselect_b32 s21, s36, s60                                // 000000006EF4: 85153C24
	s_mov_b64 exec, s[20:21]                                   // 000000006EF8: BEFE0114
	global_atomic_add_f32 v6, v114, s[8:9] offset:8            // 000000006EFC: DD348008 00087206
	global_atomic_add_f32 v6, v118, s[8:9] offset:264          // 000000006F04: DD348108 00087606
	s_mov_b64 exec, s[36:37]                                   // 000000006F0C: BEFE0124
	v_mov_b32_e32 v6, v53                                      // 000000006F10: 7E0C0335
	s_mov_b64 s[60:61], 0                                      // 000000006F14: BEBC0180
	v_readlane_b32 s82, v3, 14                                 // 000000006F18: D2890052 00011D03
	s_and_b32 s82, s82, 0xffffff                               // 000000006F20: 8652FF52 00FFFFFF
	s_cmp_lt_u32 s82, s66                                      // 000000006F28: BF0A4252
	s_cselect_b32 s20, s36, s60                                // 000000006F2C: 85143C24
	v_readlane_b32 s82, v3, 15                                 // 000000006F30: D2890052 00011F03
	s_and_b32 s82, s82, 0xffffff                               // 000000006F38: 8652FF52 00FFFFFF
	s_cmp_lt_u32 s82, s66                                      // 000000006F40: BF0A4252
	s_cselect_b32 s21, s36, s60                                // 000000006F44: 85153C24
	s_mov_b64 exec, s[20:21]                                   // 000000006F48: BEFE0114
	global_atomic_add_f32 v6, v115, s[8:9] offset:8            // 000000006F4C: DD348008 00087306
	global_atomic_add_f32 v6, v119, s[8:9] offset:264          // 000000006F54: DD348108 00087706
	s_mov_b64 exec, s[36:37]                                   // 000000006F5C: BEFE0124
	s_branch label_204C                                        // 000000006F60: BF820EF0

0000000000006f64 <label_115C>:
	s_waitcnt vmcnt(12) lgkmcnt(0)                             // 000000006F64: BF8C007C
	v_mfma_i32_16x16x32_i8 v[56:59], a[64:65], a[0:1], v[56:59]// 000000006F68: D3D70038 1CE20140
	buffer_load_dwordx4 a[96:99], v54, s[24:27], 0 offen       // 000000006F70: E05C1000 80866036
	v_mfma_i32_16x16x32_i8 v[56:59], a[66:67], a[2:3], v[56:59]// 000000006F78: D3D70038 1CE20542
	v_mfma_i32_16x16x32_i8 v[56:59], a[68:69], a[4:5], v[56:59]// 000000006F80: D3D70038 1CE20944
	v_mfma_i32_16x16x32_i8 v[56:59], a[70:71], a[6:7], v[56:59]// 000000006F88: D3D70038 1CE20D46
	v_mfma_i32_16x16x32_i8 v[72:75], a[72:73], a[0:1], v[72:75]// 000000006F90: D3D70048 1D220148
	buffer_load_dwordx4 a[100:103], v54, s[24:27], 0 offen offset:1024// 000000006F98: E05C1400 80866436
	v_mfma_i32_16x16x32_i8 v[72:75], a[74:75], a[2:3], v[72:75]// 000000006FA0: D3D70048 1D22054A
	v_mfma_i32_16x16x32_i8 v[72:75], a[76:77], a[4:5], v[72:75]// 000000006FA8: D3D70048 1D22094C
	v_mfma_i32_16x16x32_i8 v[72:75], a[78:79], a[6:7], v[72:75]// 000000006FB0: D3D70048 1D220D4E
	v_mfma_i32_16x16x32_i8 v[60:63], a[64:65], a[8:9], v[60:63]// 000000006FB8: D3D7003C 1CF21140
	buffer_load_dwordx4 a[104:107], v55, s[24:27], 0 offen     // 000000006FC0: E05C1000 80866837
	v_mfma_i32_16x16x32_i8 v[60:63], a[66:67], a[10:11], v[60:63]// 000000006FC8: D3D7003C 1CF21542
	v_mfma_i32_16x16x32_i8 v[60:63], a[68:69], a[12:13], v[60:63]// 000000006FD0: D3D7003C 1CF21944
	v_mfma_i32_16x16x32_i8 v[60:63], a[70:71], a[14:15], v[60:63]// 000000006FD8: D3D7003C 1CF21D46
	v_mfma_i32_16x16x32_i8 v[76:79], a[72:73], a[8:9], v[76:79]// 000000006FE0: D3D7004C 1D321148
	buffer_load_dwordx4 a[108:111], v55, s[24:27], 0 offen offset:1024// 000000006FE8: E05C1400 80866C37
	buffer_load_dword v46, s[20:23], 0 offen lds               // 000000006FF0: E0511000 8005002E
	s_add_u32 m0, 0x100, s50                                   // 000000006FF8: 807C32FF 00000100
	v_mfma_i32_16x16x32_i8 v[76:79], a[74:75], a[10:11], v[76:79]// 000000007000: D3D7004C 1D32154A
	v_mfma_i32_16x16x32_i8 v[76:79], a[76:77], a[12:13], v[76:79]// 000000007008: D3D7004C 1D32194C
	buffer_load_dword v47, s[20:23], 0 offen lds               // 000000007010: E0511000 8005002F
	s_add_u32 m0, 0x200, s50                                   // 000000007018: 807C32FF 00000200
	v_mfma_i32_16x16x32_i8 v[76:79], a[78:79], a[14:15], v[76:79]// 000000007020: D3D7004C 1D321D4E
	v_mfma_i32_16x16x32_i8 v[64:67], a[64:65], a[16:17], v[64:67]// 000000007028: D3D70040 1D022140
	buffer_load_dword v48, s[20:23], 0 offen lds               // 000000007030: E0511000 80050030
	s_add_u32 m0, 0x300, s50                                   // 000000007038: 807C32FF 00000300
	v_mfma_i32_16x16x32_i8 v[64:67], a[66:67], a[18:19], v[64:67]// 000000007040: D3D70040 1D022542
	v_mfma_i32_16x16x32_i8 v[64:67], a[68:69], a[20:21], v[64:67]// 000000007048: D3D70040 1D022944
	buffer_load_dword v49, s[20:23], 0 offen lds               // 000000007050: E0511000 80050031
	s_add_u32 m0, 0x400, s50                                   // 000000007058: 807C32FF 00000400
	v_mfma_i32_16x16x32_i8 v[64:67], a[70:71], a[22:23], v[64:67]// 000000007060: D3D70040 1D022D46
	v_mfma_i32_16x16x32_i8 v[80:83], a[72:73], a[16:17], v[80:83]// 000000007068: D3D70050 1D422148
	buffer_load_dword v50, s[20:23], 0 offen lds               // 000000007070: E0511000 80050032
	s_add_u32 m0, 0x500, s50                                   // 000000007078: 807C32FF 00000500
	v_mfma_i32_16x16x32_i8 v[80:83], a[74:75], a[18:19], v[80:83]// 000000007080: D3D70050 1D42254A
	v_mfma_i32_16x16x32_i8 v[80:83], a[76:77], a[20:21], v[80:83]// 000000007088: D3D70050 1D42294C
	buffer_load_dword v51, s[20:23], 0 offen lds               // 000000007090: E0511000 80050033
	s_add_u32 m0, 0x600, s50                                   // 000000007098: 807C32FF 00000600
	v_mfma_i32_16x16x32_i8 v[80:83], a[78:79], a[22:23], v[80:83]// 0000000070A0: D3D70050 1D422D4E
	v_mfma_i32_16x16x32_i8 v[68:71], a[64:65], a[24:25], v[68:71]// 0000000070A8: D3D70044 1D123140
	buffer_load_dword v52, s[20:23], 0 offen lds               // 0000000070B0: E0511000 80050034
	s_add_u32 m0, 0x700, s50                                   // 0000000070B8: 807C32FF 00000700
	v_mfma_i32_16x16x32_i8 v[68:71], a[66:67], a[26:27], v[68:71]// 0000000070C0: D3D70044 1D123542
	v_mfma_i32_16x16x32_i8 v[68:71], a[68:69], a[28:29], v[68:71]// 0000000070C8: D3D70044 1D123944
	buffer_load_dword v53, s[20:23], 0 offen lds               // 0000000070D0: E0511000 80050035
	s_add_u32 m0, 0, s48                                       // 0000000070D8: 807C3080
	v_mfma_i32_16x16x32_i8 v[68:71], a[70:71], a[30:31], v[68:71]// 0000000070DC: D3D70044 1D123D46
	v_mfma_i32_16x16x32_i8 v[84:87], a[72:73], a[24:25], v[84:87]// 0000000070E4: D3D70054 1D523148
	v_mfma_i32_16x16x32_i8 v[84:87], a[74:75], a[26:27], v[84:87]// 0000000070EC: D3D70054 1D52354A
	v_mfma_i32_16x16x32_i8 v[84:87], a[76:77], a[28:29], v[84:87]// 0000000070F4: D3D70054 1D52394C
	v_mfma_i32_16x16x32_i8 v[84:87], a[78:79], a[30:31], v[84:87]// 0000000070FC: D3D70054 1D523D4E
	s_waitcnt vmcnt(12)                                        // 000000007104: BF8C0F7C
	s_barrier                                                  // 000000007108: BF8A0000
	v_mfma_i32_16x16x32_i8 v[88:91], a[80:81], a[0:1], v[88:91]// 00000000710C: D3D70058 1D620150
	buffer_load_dwordx4 a[64:67], v54, s[84:87], 0 offen       // 000000007114: E05C1000 80954036
	v_mfma_i32_16x16x32_i8 v[88:91], a[82:83], a[2:3], v[88:91]// 00000000711C: D3D70058 1D620552
	v_mfma_i32_16x16x32_i8 v[88:91], a[84:85], a[4:5], v[88:91]// 000000007124: D3D70058 1D620954
	ds_read_b128 a[32:35], v2 offset:8320                      // 00000000712C: DBFE2080 20000002
	ds_read_b128 a[36:39], v2 offset:8384                      // 000000007134: DBFE20C0 24000002
	v_mfma_i32_16x16x32_i8 v[88:91], a[86:87], a[6:7], v[88:91]// 00000000713C: D3D70058 1D620D56
	v_mfma_i32_16x16x32_i8 v[104:107], a[88:89], a[0:1], v[104:107]// 000000007144: D3D70068 1DA20158
	buffer_load_dwordx4 a[68:71], v54, s[84:87], 0 offen offset:1024// 00000000714C: E05C1400 80954436
	v_mfma_i32_16x16x32_i8 v[104:107], a[90:91], a[2:3], v[104:107]// 000000007154: D3D70068 1DA2055A
	v_mfma_i32_16x16x32_i8 v[104:107], a[92:93], a[4:5], v[104:107]// 00000000715C: D3D70068 1DA2095C
	ds_read_b128 a[40:43], v2 offset:8832                      // 000000007164: DBFE2280 28000002
	ds_read_b128 a[44:47], v2 offset:8896                      // 00000000716C: DBFE22C0 2C000002
	v_mfma_i32_16x16x32_i8 v[104:107], a[94:95], a[6:7], v[104:107]// 000000007174: D3D70068 1DA20D5E
	v_mfma_i32_16x16x32_i8 v[92:95], a[80:81], a[8:9], v[92:95]// 00000000717C: D3D7005C 1D721150
	buffer_load_dwordx4 a[72:75], v55, s[84:87], 0 offen       // 000000007184: E05C1000 80954837
	v_mfma_i32_16x16x32_i8 v[92:95], a[82:83], a[10:11], v[92:95]// 00000000718C: D3D7005C 1D721552
	v_mfma_i32_16x16x32_i8 v[92:95], a[84:85], a[12:13], v[92:95]// 000000007194: D3D7005C 1D721954
	ds_read_b128 a[48:51], v2 offset:9344                      // 00000000719C: DBFE2480 30000002
	ds_read_b128 a[52:55], v2 offset:9408                      // 0000000071A4: DBFE24C0 34000002
	v_mfma_i32_16x16x32_i8 v[92:95], a[86:87], a[14:15], v[92:95]// 0000000071AC: D3D7005C 1D721D56
	v_mfma_i32_16x16x32_i8 v[108:111], a[88:89], a[8:9], v[108:111]// 0000000071B4: D3D7006C 1DB21158
	buffer_load_dwordx4 a[76:79], v55, s[84:87], 0 offen offset:1024// 0000000071BC: E05C1400 80954C37
	v_mfma_i32_16x16x32_i8 v[108:111], a[90:91], a[10:11], v[108:111]// 0000000071C4: D3D7006C 1DB2155A
	v_mfma_i32_16x16x32_i8 v[108:111], a[92:93], a[12:13], v[108:111]// 0000000071CC: D3D7006C 1DB2195C
	ds_read_b128 a[56:59], v2 offset:9856                      // 0000000071D4: DBFE2680 38000002
	ds_read_b128 a[60:63], v2 offset:9920                      // 0000000071DC: DBFE26C0 3C000002
	v_mfma_i32_16x16x32_i8 v[108:111], a[94:95], a[14:15], v[108:111]// 0000000071E4: D3D7006C 1DB21D5E
	v_mfma_i32_16x16x32_i8 v[96:99], a[80:81], a[16:17], v[96:99]// 0000000071EC: D3D70060 1D822150
	v_mfma_i32_16x16x32_i8 v[96:99], a[82:83], a[18:19], v[96:99]// 0000000071F4: D3D70060 1D822552
	v_mfma_i32_16x16x32_i8 v[96:99], a[84:85], a[20:21], v[96:99]// 0000000071FC: D3D70060 1D822954
	v_mfma_i32_16x16x32_i8 v[96:99], a[86:87], a[22:23], v[96:99]// 000000007204: D3D70060 1D822D56
	v_mfma_i32_16x16x32_i8 v[112:115], a[88:89], a[16:17], v[112:115]// 00000000720C: D3D70070 1DC22158
	v_mfma_i32_16x16x32_i8 v[112:115], a[90:91], a[18:19], v[112:115]// 000000007214: D3D70070 1DC2255A
	v_mfma_i32_16x16x32_i8 v[112:115], a[92:93], a[20:21], v[112:115]// 00000000721C: D3D70070 1DC2295C
	v_mfma_i32_16x16x32_i8 v[112:115], a[94:95], a[22:23], v[112:115]// 000000007224: D3D70070 1DC22D5E
	v_mfma_i32_16x16x32_i8 v[100:103], a[80:81], a[24:25], v[100:103]// 00000000722C: D3D70064 1D923150
	s_add_u32 s60, 0x180, s80                                  // 000000007234: 803C50FF 00000180
	s_cmp_lt_u32 s60, s81                                      // 00000000723C: BF0A513C
	s_cselect_b32 s57, s57, 0                                  // 000000007240: 85398039
	v_mfma_i32_16x16x32_i8 v[100:103], a[82:83], a[26:27], v[100:103]// 000000007244: D3D70064 1D923552
	s_add_u32 s60, 0x100, s80                                  // 00000000724C: 803C50FF 00000100
	s_cmp_lt_u32 s60, s81                                      // 000000007254: BF0A513C
	s_cselect_b32 s58, s58, 0                                  // 000000007258: 853A803A
	v_mfma_i32_16x16x32_i8 v[100:103], a[84:85], a[28:29], v[100:103]// 00000000725C: D3D70064 1D923954
	s_add_u32 s60, 0x100, s80                                  // 000000007264: 803C50FF 00000100
	s_cmp_lt_u32 s60, s81                                      // 00000000726C: BF0A513C
	s_cselect_b32 s83, s83, 0                                  // 000000007270: 85538053
	v_mfma_i32_16x16x32_i8 v[100:103], a[86:87], a[30:31], v[100:103]// 000000007274: D3D70064 1D923D56
	s_add_u32 s24, s58, s24                                    // 00000000727C: 8018183A
	s_addc_u32 s25, 0, s25                                     // 000000007280: 82191980
	v_mfma_i32_16x16x32_i8 v[116:119], a[88:89], a[24:25], v[116:119]// 000000007284: D3D70074 1DD23158
	s_add_u32 s20, s57, s20                                    // 00000000728C: 80141439
	s_addc_u32 s21, 0, s21                                     // 000000007290: 82151580
	v_mfma_i32_16x16x32_i8 v[116:119], a[90:91], a[26:27], v[116:119]// 000000007294: D3D70074 1DD2355A
	s_add_u32 s84, s83, s84                                    // 00000000729C: 80545453
	s_addc_u32 s85, 0, s85                                     // 0000000072A0: 82555580
	v_mfma_i32_16x16x32_i8 v[116:119], a[92:93], a[28:29], v[116:119]// 0000000072A4: D3D70074 1DD2395C
	v_mfma_i32_16x16x32_i8 v[116:119], a[94:95], a[30:31], v[116:119]// 0000000072AC: D3D70074 1DD23D5E
	s_addk_i32 s80, 0x80                                       // 0000000072B4: B7500080
	s_cmp_lt_i32 s80, s81                                      // 0000000072B8: BF045150
	s_cbranch_scc0 label_1667                                  // 0000000072BC: BF840434
	s_waitcnt vmcnt(12) lgkmcnt(0)                             // 0000000072C0: BF8C007C
	v_mfma_i32_16x16x32_i8 v[56:59], a[96:97], a[32:33], v[56:59]// 0000000072C4: D3D70038 1CE24160
	buffer_load_dwordx4 a[80:83], v54, s[24:27], 0 offen       // 0000000072CC: E05C1000 80865036
	v_mfma_i32_16x16x32_i8 v[56:59], a[98:99], a[34:35], v[56:59]// 0000000072D4: D3D70038 1CE24562
	v_mfma_i32_16x16x32_i8 v[56:59], a[100:101], a[36:37], v[56:59]// 0000000072DC: D3D70038 1CE24964
	v_mfma_i32_16x16x32_i8 v[56:59], a[102:103], a[38:39], v[56:59]// 0000000072E4: D3D70038 1CE24D66
	v_mfma_i32_16x16x32_i8 v[72:75], a[104:105], a[32:33], v[72:75]// 0000000072EC: D3D70048 1D224168
	buffer_load_dwordx4 a[84:87], v54, s[24:27], 0 offen offset:1024// 0000000072F4: E05C1400 80865436
	v_mfma_i32_16x16x32_i8 v[72:75], a[106:107], a[34:35], v[72:75]// 0000000072FC: D3D70048 1D22456A
	v_mfma_i32_16x16x32_i8 v[72:75], a[108:109], a[36:37], v[72:75]// 000000007304: D3D70048 1D22496C
	v_mfma_i32_16x16x32_i8 v[72:75], a[110:111], a[38:39], v[72:75]// 00000000730C: D3D70048 1D224D6E
	v_mfma_i32_16x16x32_i8 v[60:63], a[96:97], a[40:41], v[60:63]// 000000007314: D3D7003C 1CF25160
	buffer_load_dwordx4 a[88:91], v55, s[24:27], 0 offen       // 00000000731C: E05C1000 80865837
	v_mfma_i32_16x16x32_i8 v[60:63], a[98:99], a[42:43], v[60:63]// 000000007324: D3D7003C 1CF25562
	v_mfma_i32_16x16x32_i8 v[60:63], a[100:101], a[44:45], v[60:63]// 00000000732C: D3D7003C 1CF25964
	v_mfma_i32_16x16x32_i8 v[60:63], a[102:103], a[46:47], v[60:63]// 000000007334: D3D7003C 1CF25D66
	v_mfma_i32_16x16x32_i8 v[76:79], a[104:105], a[40:41], v[76:79]// 00000000733C: D3D7004C 1D325168
	buffer_load_dwordx4 a[92:95], v55, s[24:27], 0 offen offset:1024// 000000007344: E05C1400 80865C37
	buffer_load_dword v46, s[20:23], 0 offen lds               // 00000000734C: E0511000 8005002E
	s_add_u32 m0, 0x100, s48                                   // 000000007354: 807C30FF 00000100
	v_mfma_i32_16x16x32_i8 v[76:79], a[106:107], a[42:43], v[76:79]// 00000000735C: D3D7004C 1D32556A
	v_mfma_i32_16x16x32_i8 v[76:79], a[108:109], a[44:45], v[76:79]// 000000007364: D3D7004C 1D32596C
	buffer_load_dword v47, s[20:23], 0 offen lds               // 00000000736C: E0511000 8005002F
	s_add_u32 m0, 0x200, s48                                   // 000000007374: 807C30FF 00000200
	v_mfma_i32_16x16x32_i8 v[76:79], a[110:111], a[46:47], v[76:79]// 00000000737C: D3D7004C 1D325D6E
	v_mfma_i32_16x16x32_i8 v[64:67], a[96:97], a[48:49], v[64:67]// 000000007384: D3D70040 1D026160
	buffer_load_dword v48, s[20:23], 0 offen lds               // 00000000738C: E0511000 80050030
	s_add_u32 m0, 0x300, s48                                   // 000000007394: 807C30FF 00000300
	v_mfma_i32_16x16x32_i8 v[64:67], a[98:99], a[50:51], v[64:67]// 00000000739C: D3D70040 1D026562
	v_mfma_i32_16x16x32_i8 v[64:67], a[100:101], a[52:53], v[64:67]// 0000000073A4: D3D70040 1D026964
	buffer_load_dword v49, s[20:23], 0 offen lds               // 0000000073AC: E0511000 80050031
	s_add_u32 m0, 0x400, s48                                   // 0000000073B4: 807C30FF 00000400
	v_mfma_i32_16x16x32_i8 v[64:67], a[102:103], a[54:55], v[64:67]// 0000000073BC: D3D70040 1D026D66
	v_mfma_i32_16x16x32_i8 v[80:83], a[104:105], a[48:49], v[80:83]// 0000000073C4: D3D70050 1D426168
	buffer_load_dword v50, s[20:23], 0 offen lds               // 0000000073CC: E0511000 80050032
	s_add_u32 m0, 0x500, s48                                   // 0000000073D4: 807C30FF 00000500
	v_mfma_i32_16x16x32_i8 v[80:83], a[106:107], a[50:51], v[80:83]// 0000000073DC: D3D70050 1D42656A
	v_mfma_i32_16x16x32_i8 v[80:83], a[108:109], a[52:53], v[80:83]// 0000000073E4: D3D70050 1D42696C
	buffer_load_dword v51, s[20:23], 0 offen lds               // 0000000073EC: E0511000 80050033
	s_add_u32 m0, 0x600, s48                                   // 0000000073F4: 807C30FF 00000600
	v_mfma_i32_16x16x32_i8 v[80:83], a[110:111], a[54:55], v[80:83]// 0000000073FC: D3D70050 1D426D6E
	v_mfma_i32_16x16x32_i8 v[68:71], a[96:97], a[56:57], v[68:71]// 000000007404: D3D70044 1D127160
	buffer_load_dword v52, s[20:23], 0 offen lds               // 00000000740C: E0511000 80050034
	s_add_u32 m0, 0x700, s48                                   // 000000007414: 807C30FF 00000700
	v_mfma_i32_16x16x32_i8 v[68:71], a[98:99], a[58:59], v[68:71]// 00000000741C: D3D70044 1D127562
	v_mfma_i32_16x16x32_i8 v[68:71], a[100:101], a[60:61], v[68:71]// 000000007424: D3D70044 1D127964
	buffer_load_dword v53, s[20:23], 0 offen lds               // 00000000742C: E0511000 80050035
	s_add_u32 m0, 0, s49                                       // 000000007434: 807C3180
	v_mfma_i32_16x16x32_i8 v[68:71], a[102:103], a[62:63], v[68:71]// 000000007438: D3D70044 1D127D66
	v_mfma_i32_16x16x32_i8 v[84:87], a[104:105], a[56:57], v[84:87]// 000000007440: D3D70054 1D527168
	v_mfma_i32_16x16x32_i8 v[84:87], a[106:107], a[58:59], v[84:87]// 000000007448: D3D70054 1D52756A
	v_mfma_i32_16x16x32_i8 v[84:87], a[108:109], a[60:61], v[84:87]// 000000007450: D3D70054 1D52796C
	v_mfma_i32_16x16x32_i8 v[84:87], a[110:111], a[62:63], v[84:87]// 000000007458: D3D70054 1D527D6E
	s_waitcnt vmcnt(12)                                        // 000000007460: BF8C0F7C
	s_barrier                                                  // 000000007464: BF8A0000
	v_mfma_i32_16x16x32_i8 v[88:91], a[64:65], a[32:33], v[88:91]// 000000007468: D3D70058 1D624140
	buffer_load_dwordx4 a[96:99], v54, s[84:87], 0 offen       // 000000007470: E05C1000 80956036
	v_mfma_i32_16x16x32_i8 v[88:91], a[66:67], a[34:35], v[88:91]// 000000007478: D3D70058 1D624542
	v_mfma_i32_16x16x32_i8 v[88:91], a[68:69], a[36:37], v[88:91]// 000000007480: D3D70058 1D624944
	ds_read_b128 a[0:3], v2 offset:16640                       // 000000007488: DBFE4100 00000002
	ds_read_b128 a[4:7], v2 offset:16704                       // 000000007490: DBFE4140 04000002
	v_mfma_i32_16x16x32_i8 v[88:91], a[70:71], a[38:39], v[88:91]// 000000007498: D3D70058 1D624D46
	v_mfma_i32_16x16x32_i8 v[104:107], a[72:73], a[32:33], v[104:107]// 0000000074A0: D3D70068 1DA24148
	buffer_load_dwordx4 a[100:103], v54, s[84:87], 0 offen offset:1024// 0000000074A8: E05C1400 80956436
	v_mfma_i32_16x16x32_i8 v[104:107], a[74:75], a[34:35], v[104:107]// 0000000074B0: D3D70068 1DA2454A
	v_mfma_i32_16x16x32_i8 v[104:107], a[76:77], a[36:37], v[104:107]// 0000000074B8: D3D70068 1DA2494C
	ds_read_b128 a[8:11], v2 offset:17152                      // 0000000074C0: DBFE4300 08000002
	ds_read_b128 a[12:15], v2 offset:17216                     // 0000000074C8: DBFE4340 0C000002
	v_mfma_i32_16x16x32_i8 v[104:107], a[78:79], a[38:39], v[104:107]// 0000000074D0: D3D70068 1DA24D4E
	v_mfma_i32_16x16x32_i8 v[92:95], a[64:65], a[40:41], v[92:95]// 0000000074D8: D3D7005C 1D725140
	buffer_load_dwordx4 a[104:107], v55, s[84:87], 0 offen     // 0000000074E0: E05C1000 80956837
	v_mfma_i32_16x16x32_i8 v[92:95], a[66:67], a[42:43], v[92:95]// 0000000074E8: D3D7005C 1D725542
	v_mfma_i32_16x16x32_i8 v[92:95], a[68:69], a[44:45], v[92:95]// 0000000074F0: D3D7005C 1D725944
	ds_read_b128 a[16:19], v2 offset:17664                     // 0000000074F8: DBFE4500 10000002
	ds_read_b128 a[20:23], v2 offset:17728                     // 000000007500: DBFE4540 14000002
	v_mfma_i32_16x16x32_i8 v[92:95], a[70:71], a[46:47], v[92:95]// 000000007508: D3D7005C 1D725D46
	v_mfma_i32_16x16x32_i8 v[108:111], a[72:73], a[40:41], v[108:111]// 000000007510: D3D7006C 1DB25148
	buffer_load_dwordx4 a[108:111], v55, s[84:87], 0 offen offset:1024// 000000007518: E05C1400 80956C37
	v_mfma_i32_16x16x32_i8 v[108:111], a[74:75], a[42:43], v[108:111]// 000000007520: D3D7006C 1DB2554A
	v_mfma_i32_16x16x32_i8 v[108:111], a[76:77], a[44:45], v[108:111]// 000000007528: D3D7006C 1DB2594C
	ds_read_b128 a[24:27], v2 offset:18176                     // 000000007530: DBFE4700 18000002
	ds_read_b128 a[28:31], v2 offset:18240                     // 000000007538: DBFE4740 1C000002
	v_mfma_i32_16x16x32_i8 v[108:111], a[78:79], a[46:47], v[108:111]// 000000007540: D3D7006C 1DB25D4E
	v_mfma_i32_16x16x32_i8 v[96:99], a[64:65], a[48:49], v[96:99]// 000000007548: D3D70060 1D826140
	v_mfma_i32_16x16x32_i8 v[96:99], a[66:67], a[50:51], v[96:99]// 000000007550: D3D70060 1D826542
	v_mfma_i32_16x16x32_i8 v[96:99], a[68:69], a[52:53], v[96:99]// 000000007558: D3D70060 1D826944
	v_mfma_i32_16x16x32_i8 v[96:99], a[70:71], a[54:55], v[96:99]// 000000007560: D3D70060 1D826D46
	v_mfma_i32_16x16x32_i8 v[112:115], a[72:73], a[48:49], v[112:115]// 000000007568: D3D70070 1DC26148
	v_mfma_i32_16x16x32_i8 v[112:115], a[74:75], a[50:51], v[112:115]// 000000007570: D3D70070 1DC2654A
	v_mfma_i32_16x16x32_i8 v[112:115], a[76:77], a[52:53], v[112:115]// 000000007578: D3D70070 1DC2694C
	v_mfma_i32_16x16x32_i8 v[112:115], a[78:79], a[54:55], v[112:115]// 000000007580: D3D70070 1DC26D4E
	v_mfma_i32_16x16x32_i8 v[100:103], a[64:65], a[56:57], v[100:103]// 000000007588: D3D70064 1D927140
	s_add_u32 s60, 0x180, s80                                  // 000000007590: 803C50FF 00000180
	s_cmp_lt_u32 s60, s81                                      // 000000007598: BF0A513C
	s_cselect_b32 s57, s57, 0                                  // 00000000759C: 85398039
	v_mfma_i32_16x16x32_i8 v[100:103], a[66:67], a[58:59], v[100:103]// 0000000075A0: D3D70064 1D927542
	s_add_u32 s60, 0x100, s80                                  // 0000000075A8: 803C50FF 00000100
	s_cmp_lt_u32 s60, s81                                      // 0000000075B0: BF0A513C
	s_cselect_b32 s58, s58, 0                                  // 0000000075B4: 853A803A
	v_mfma_i32_16x16x32_i8 v[100:103], a[68:69], a[60:61], v[100:103]// 0000000075B8: D3D70064 1D927944
	s_add_u32 s60, 0x100, s80                                  // 0000000075C0: 803C50FF 00000100
	s_cmp_lt_u32 s60, s81                                      // 0000000075C8: BF0A513C
	s_cselect_b32 s83, s83, 0                                  // 0000000075CC: 85538053
	v_mfma_i32_16x16x32_i8 v[100:103], a[70:71], a[62:63], v[100:103]// 0000000075D0: D3D70064 1D927D46
	s_add_u32 s24, s58, s24                                    // 0000000075D8: 8018183A
	s_addc_u32 s25, 0, s25                                     // 0000000075DC: 82191980
	v_mfma_i32_16x16x32_i8 v[116:119], a[72:73], a[56:57], v[116:119]// 0000000075E0: D3D70074 1DD27148
	s_add_u32 s20, s57, s20                                    // 0000000075E8: 80141439
	s_addc_u32 s21, 0, s21                                     // 0000000075EC: 82151580
	v_mfma_i32_16x16x32_i8 v[116:119], a[74:75], a[58:59], v[116:119]// 0000000075F0: D3D70074 1DD2754A
	s_add_u32 s84, s83, s84                                    // 0000000075F8: 80545453
	s_addc_u32 s85, 0, s85                                     // 0000000075FC: 82555580
	v_mfma_i32_16x16x32_i8 v[116:119], a[76:77], a[60:61], v[116:119]// 000000007600: D3D70074 1DD2794C
	v_mfma_i32_16x16x32_i8 v[116:119], a[78:79], a[62:63], v[116:119]// 000000007608: D3D70074 1DD27D4E
	s_addk_i32 s80, 0x80                                       // 000000007610: B7500080
	s_cmp_lt_i32 s80, s81                                      // 000000007614: BF045150
	s_cbranch_scc0 label_1667                                  // 000000007618: BF84035D
	s_waitcnt vmcnt(12) lgkmcnt(0)                             // 00000000761C: BF8C007C
	v_mfma_i32_16x16x32_i8 v[56:59], a[80:81], a[0:1], v[56:59]// 000000007620: D3D70038 1CE20150
	buffer_load_dwordx4 a[64:67], v54, s[24:27], 0 offen       // 000000007628: E05C1000 80864036
	v_mfma_i32_16x16x32_i8 v[56:59], a[82:83], a[2:3], v[56:59]// 000000007630: D3D70038 1CE20552
	v_mfma_i32_16x16x32_i8 v[56:59], a[84:85], a[4:5], v[56:59]// 000000007638: D3D70038 1CE20954
	v_mfma_i32_16x16x32_i8 v[56:59], a[86:87], a[6:7], v[56:59]// 000000007640: D3D70038 1CE20D56
	v_mfma_i32_16x16x32_i8 v[72:75], a[88:89], a[0:1], v[72:75]// 000000007648: D3D70048 1D220158
	buffer_load_dwordx4 a[68:71], v54, s[24:27], 0 offen offset:1024// 000000007650: E05C1400 80864436
	v_mfma_i32_16x16x32_i8 v[72:75], a[90:91], a[2:3], v[72:75]// 000000007658: D3D70048 1D22055A
	v_mfma_i32_16x16x32_i8 v[72:75], a[92:93], a[4:5], v[72:75]// 000000007660: D3D70048 1D22095C
	v_mfma_i32_16x16x32_i8 v[72:75], a[94:95], a[6:7], v[72:75]// 000000007668: D3D70048 1D220D5E
	v_mfma_i32_16x16x32_i8 v[60:63], a[80:81], a[8:9], v[60:63]// 000000007670: D3D7003C 1CF21150
	buffer_load_dwordx4 a[72:75], v55, s[24:27], 0 offen       // 000000007678: E05C1000 80864837
	v_mfma_i32_16x16x32_i8 v[60:63], a[82:83], a[10:11], v[60:63]// 000000007680: D3D7003C 1CF21552
	v_mfma_i32_16x16x32_i8 v[60:63], a[84:85], a[12:13], v[60:63]// 000000007688: D3D7003C 1CF21954
	v_mfma_i32_16x16x32_i8 v[60:63], a[86:87], a[14:15], v[60:63]// 000000007690: D3D7003C 1CF21D56
	v_mfma_i32_16x16x32_i8 v[76:79], a[88:89], a[8:9], v[76:79]// 000000007698: D3D7004C 1D321158
	buffer_load_dwordx4 a[76:79], v55, s[24:27], 0 offen offset:1024// 0000000076A0: E05C1400 80864C37
	buffer_load_dword v46, s[20:23], 0 offen lds               // 0000000076A8: E0511000 8005002E
	s_add_u32 m0, 0x100, s49                                   // 0000000076B0: 807C31FF 00000100
	v_mfma_i32_16x16x32_i8 v[76:79], a[90:91], a[10:11], v[76:79]// 0000000076B8: D3D7004C 1D32155A
	v_mfma_i32_16x16x32_i8 v[76:79], a[92:93], a[12:13], v[76:79]// 0000000076C0: D3D7004C 1D32195C
	buffer_load_dword v47, s[20:23], 0 offen lds               // 0000000076C8: E0511000 8005002F
	s_add_u32 m0, 0x200, s49                                   // 0000000076D0: 807C31FF 00000200
	v_mfma_i32_16x16x32_i8 v[76:79], a[94:95], a[14:15], v[76:79]// 0000000076D8: D3D7004C 1D321D5E
	v_mfma_i32_16x16x32_i8 v[64:67], a[80:81], a[16:17], v[64:67]// 0000000076E0: D3D70040 1D022150
	buffer_load_dword v48, s[20:23], 0 offen lds               // 0000000076E8: E0511000 80050030
	s_add_u32 m0, 0x300, s49                                   // 0000000076F0: 807C31FF 00000300
	v_mfma_i32_16x16x32_i8 v[64:67], a[82:83], a[18:19], v[64:67]// 0000000076F8: D3D70040 1D022552
	v_mfma_i32_16x16x32_i8 v[64:67], a[84:85], a[20:21], v[64:67]// 000000007700: D3D70040 1D022954
	buffer_load_dword v49, s[20:23], 0 offen lds               // 000000007708: E0511000 80050031
	s_add_u32 m0, 0x400, s49                                   // 000000007710: 807C31FF 00000400
	v_mfma_i32_16x16x32_i8 v[64:67], a[86:87], a[22:23], v[64:67]// 000000007718: D3D70040 1D022D56
	v_mfma_i32_16x16x32_i8 v[80:83], a[88:89], a[16:17], v[80:83]// 000000007720: D3D70050 1D422158
	buffer_load_dword v50, s[20:23], 0 offen lds               // 000000007728: E0511000 80050032
	s_add_u32 m0, 0x500, s49                                   // 000000007730: 807C31FF 00000500
	v_mfma_i32_16x16x32_i8 v[80:83], a[90:91], a[18:19], v[80:83]// 000000007738: D3D70050 1D42255A
	v_mfma_i32_16x16x32_i8 v[80:83], a[92:93], a[20:21], v[80:83]// 000000007740: D3D70050 1D42295C
	buffer_load_dword v51, s[20:23], 0 offen lds               // 000000007748: E0511000 80050033
	s_add_u32 m0, 0x600, s49                                   // 000000007750: 807C31FF 00000600
	v_mfma_i32_16x16x32_i8 v[80:83], a[94:95], a[22:23], v[80:83]// 000000007758: D3D70050 1D422D5E
	v_mfma_i32_16x16x32_i8 v[68:71], a[80:81], a[24:25], v[68:71]// 000000007760: D3D70044 1D123150
	buffer_load_dword v52, s[20:23], 0 offen lds               // 000000007768: E0511000 80050034
	s_add_u32 m0, 0x700, s49                                   // 000000007770: 807C31FF 00000700
	v_mfma_i32_16x16x32_i8 v[68:71], a[82:83], a[26:27], v[68:71]// 000000007778: D3D70044 1D123552
	v_mfma_i32_16x16x32_i8 v[68:71], a[84:85], a[28:29], v[68:71]// 000000007780: D3D70044 1D123954
	buffer_load_dword v53, s[20:23], 0 offen lds               // 000000007788: E0511000 80050035
	s_add_u32 m0, 0, s50                                       // 000000007790: 807C3280
	v_mfma_i32_16x16x32_i8 v[68:71], a[86:87], a[30:31], v[68:71]// 000000007794: D3D70044 1D123D56
	v_mfma_i32_16x16x32_i8 v[84:87], a[88:89], a[24:25], v[84:87]// 00000000779C: D3D70054 1D523158
	v_mfma_i32_16x16x32_i8 v[84:87], a[90:91], a[26:27], v[84:87]// 0000000077A4: D3D70054 1D52355A
	v_mfma_i32_16x16x32_i8 v[84:87], a[92:93], a[28:29], v[84:87]// 0000000077AC: D3D70054 1D52395C
	v_mfma_i32_16x16x32_i8 v[84:87], a[94:95], a[30:31], v[84:87]// 0000000077B4: D3D70054 1D523D5E
	s_waitcnt vmcnt(12)                                        // 0000000077BC: BF8C0F7C
	s_barrier                                                  // 0000000077C0: BF8A0000
	v_mfma_i32_16x16x32_i8 v[88:91], a[96:97], a[0:1], v[88:91]// 0000000077C4: D3D70058 1D620160
	buffer_load_dwordx4 a[80:83], v54, s[84:87], 0 offen       // 0000000077CC: E05C1000 80955036
	v_mfma_i32_16x16x32_i8 v[88:91], a[98:99], a[2:3], v[88:91]// 0000000077D4: D3D70058 1D620562
	v_mfma_i32_16x16x32_i8 v[88:91], a[100:101], a[4:5], v[88:91]// 0000000077DC: D3D70058 1D620964
	ds_read_b128 a[32:35], v2                                  // 0000000077E4: DBFE0000 20000002
	ds_read_b128 a[36:39], v2 offset:64                        // 0000000077EC: DBFE0040 24000002
	v_mfma_i32_16x16x32_i8 v[88:91], a[102:103], a[6:7], v[88:91]// 0000000077F4: D3D70058 1D620D66
	v_mfma_i32_16x16x32_i8 v[104:107], a[104:105], a[0:1], v[104:107]// 0000000077FC: D3D70068 1DA20168
	buffer_load_dwordx4 a[84:87], v54, s[84:87], 0 offen offset:1024// 000000007804: E05C1400 80955436
	v_mfma_i32_16x16x32_i8 v[104:107], a[106:107], a[2:3], v[104:107]// 00000000780C: D3D70068 1DA2056A
	v_mfma_i32_16x16x32_i8 v[104:107], a[108:109], a[4:5], v[104:107]// 000000007814: D3D70068 1DA2096C
	ds_read_b128 a[40:43], v2 offset:512                       // 00000000781C: DBFE0200 28000002
	ds_read_b128 a[44:47], v2 offset:576                       // 000000007824: DBFE0240 2C000002
	v_mfma_i32_16x16x32_i8 v[104:107], a[110:111], a[6:7], v[104:107]// 00000000782C: D3D70068 1DA20D6E
	v_mfma_i32_16x16x32_i8 v[92:95], a[96:97], a[8:9], v[92:95]// 000000007834: D3D7005C 1D721160
	buffer_load_dwordx4 a[88:91], v55, s[84:87], 0 offen       // 00000000783C: E05C1000 80955837
	v_mfma_i32_16x16x32_i8 v[92:95], a[98:99], a[10:11], v[92:95]// 000000007844: D3D7005C 1D721562
	v_mfma_i32_16x16x32_i8 v[92:95], a[100:101], a[12:13], v[92:95]// 00000000784C: D3D7005C 1D721964
	ds_read_b128 a[48:51], v2 offset:1024                      // 000000007854: DBFE0400 30000002
	ds_read_b128 a[52:55], v2 offset:1088                      // 00000000785C: DBFE0440 34000002
	v_mfma_i32_16x16x32_i8 v[92:95], a[102:103], a[14:15], v[92:95]// 000000007864: D3D7005C 1D721D66
	v_mfma_i32_16x16x32_i8 v[108:111], a[104:105], a[8:9], v[108:111]// 00000000786C: D3D7006C 1DB21168
	buffer_load_dwordx4 a[92:95], v55, s[84:87], 0 offen offset:1024// 000000007874: E05C1400 80955C37
	v_mfma_i32_16x16x32_i8 v[108:111], a[106:107], a[10:11], v[108:111]// 00000000787C: D3D7006C 1DB2156A
	v_mfma_i32_16x16x32_i8 v[108:111], a[108:109], a[12:13], v[108:111]// 000000007884: D3D7006C 1DB2196C
	ds_read_b128 a[56:59], v2 offset:1536                      // 00000000788C: DBFE0600 38000002
	ds_read_b128 a[60:63], v2 offset:1600                      // 000000007894: DBFE0640 3C000002
	v_mfma_i32_16x16x32_i8 v[108:111], a[110:111], a[14:15], v[108:111]// 00000000789C: D3D7006C 1DB21D6E
	v_mfma_i32_16x16x32_i8 v[96:99], a[96:97], a[16:17], v[96:99]// 0000000078A4: D3D70060 1D822160
	v_mfma_i32_16x16x32_i8 v[96:99], a[98:99], a[18:19], v[96:99]// 0000000078AC: D3D70060 1D822562
	v_mfma_i32_16x16x32_i8 v[96:99], a[100:101], a[20:21], v[96:99]// 0000000078B4: D3D70060 1D822964
	v_mfma_i32_16x16x32_i8 v[96:99], a[102:103], a[22:23], v[96:99]// 0000000078BC: D3D70060 1D822D66
	v_mfma_i32_16x16x32_i8 v[112:115], a[104:105], a[16:17], v[112:115]// 0000000078C4: D3D70070 1DC22168
	v_mfma_i32_16x16x32_i8 v[112:115], a[106:107], a[18:19], v[112:115]// 0000000078CC: D3D70070 1DC2256A
	v_mfma_i32_16x16x32_i8 v[112:115], a[108:109], a[20:21], v[112:115]// 0000000078D4: D3D70070 1DC2296C
	v_mfma_i32_16x16x32_i8 v[112:115], a[110:111], a[22:23], v[112:115]// 0000000078DC: D3D70070 1DC22D6E
	v_mfma_i32_16x16x32_i8 v[100:103], a[96:97], a[24:25], v[100:103]// 0000000078E4: D3D70064 1D923160
	s_add_u32 s60, 0x180, s80                                  // 0000000078EC: 803C50FF 00000180
	s_cmp_lt_u32 s60, s81                                      // 0000000078F4: BF0A513C
	s_cselect_b32 s57, s57, 0                                  // 0000000078F8: 85398039
	v_mfma_i32_16x16x32_i8 v[100:103], a[98:99], a[26:27], v[100:103]// 0000000078FC: D3D70064 1D923562
	s_add_u32 s60, 0x100, s80                                  // 000000007904: 803C50FF 00000100
	s_cmp_lt_u32 s60, s81                                      // 00000000790C: BF0A513C
	s_cselect_b32 s58, s58, 0                                  // 000000007910: 853A803A
	v_mfma_i32_16x16x32_i8 v[100:103], a[100:101], a[28:29], v[100:103]// 000000007914: D3D70064 1D923964
	s_add_u32 s60, 0x100, s80                                  // 00000000791C: 803C50FF 00000100
	s_cmp_lt_u32 s60, s81                                      // 000000007924: BF0A513C
	s_cselect_b32 s83, s83, 0                                  // 000000007928: 85538053
	v_mfma_i32_16x16x32_i8 v[100:103], a[102:103], a[30:31], v[100:103]// 00000000792C: D3D70064 1D923D66
	s_add_u32 s24, s58, s24                                    // 000000007934: 8018183A
	s_addc_u32 s25, 0, s25                                     // 000000007938: 82191980
	v_mfma_i32_16x16x32_i8 v[116:119], a[104:105], a[24:25], v[116:119]// 00000000793C: D3D70074 1DD23168
	s_add_u32 s20, s57, s20                                    // 000000007944: 80141439
	s_addc_u32 s21, 0, s21                                     // 000000007948: 82151580
	v_mfma_i32_16x16x32_i8 v[116:119], a[106:107], a[26:27], v[116:119]// 00000000794C: D3D70074 1DD2356A
	s_add_u32 s84, s83, s84                                    // 000000007954: 80545453
	s_addc_u32 s85, 0, s85                                     // 000000007958: 82555580
	v_mfma_i32_16x16x32_i8 v[116:119], a[108:109], a[28:29], v[116:119]// 00000000795C: D3D70074 1DD2396C
	v_mfma_i32_16x16x32_i8 v[116:119], a[110:111], a[30:31], v[116:119]// 000000007964: D3D70074 1DD23D6E
	s_addk_i32 s80, 0x80                                       // 00000000796C: B7500080
	s_cmp_lt_i32 s80, s81                                      // 000000007970: BF045150
	s_cbranch_scc0 label_1667                                  // 000000007974: BF840286
	s_waitcnt vmcnt(12) lgkmcnt(0)                             // 000000007978: BF8C007C
	v_mfma_i32_16x16x32_i8 v[56:59], a[64:65], a[32:33], v[56:59]// 00000000797C: D3D70038 1CE24140
	buffer_load_dwordx4 a[96:99], v54, s[24:27], 0 offen       // 000000007984: E05C1000 80866036
	v_mfma_i32_16x16x32_i8 v[56:59], a[66:67], a[34:35], v[56:59]// 00000000798C: D3D70038 1CE24542
	v_mfma_i32_16x16x32_i8 v[56:59], a[68:69], a[36:37], v[56:59]// 000000007994: D3D70038 1CE24944
	v_mfma_i32_16x16x32_i8 v[56:59], a[70:71], a[38:39], v[56:59]// 00000000799C: D3D70038 1CE24D46
	v_mfma_i32_16x16x32_i8 v[72:75], a[72:73], a[32:33], v[72:75]// 0000000079A4: D3D70048 1D224148
	buffer_load_dwordx4 a[100:103], v54, s[24:27], 0 offen offset:1024// 0000000079AC: E05C1400 80866436
	v_mfma_i32_16x16x32_i8 v[72:75], a[74:75], a[34:35], v[72:75]// 0000000079B4: D3D70048 1D22454A
	v_mfma_i32_16x16x32_i8 v[72:75], a[76:77], a[36:37], v[72:75]// 0000000079BC: D3D70048 1D22494C
	v_mfma_i32_16x16x32_i8 v[72:75], a[78:79], a[38:39], v[72:75]// 0000000079C4: D3D70048 1D224D4E
	v_mfma_i32_16x16x32_i8 v[60:63], a[64:65], a[40:41], v[60:63]// 0000000079CC: D3D7003C 1CF25140
	buffer_load_dwordx4 a[104:107], v55, s[24:27], 0 offen     // 0000000079D4: E05C1000 80866837
	v_mfma_i32_16x16x32_i8 v[60:63], a[66:67], a[42:43], v[60:63]// 0000000079DC: D3D7003C 1CF25542
	v_mfma_i32_16x16x32_i8 v[60:63], a[68:69], a[44:45], v[60:63]// 0000000079E4: D3D7003C 1CF25944
	v_mfma_i32_16x16x32_i8 v[60:63], a[70:71], a[46:47], v[60:63]// 0000000079EC: D3D7003C 1CF25D46
	v_mfma_i32_16x16x32_i8 v[76:79], a[72:73], a[40:41], v[76:79]// 0000000079F4: D3D7004C 1D325148
	buffer_load_dwordx4 a[108:111], v55, s[24:27], 0 offen offset:1024// 0000000079FC: E05C1400 80866C37
	buffer_load_dword v46, s[20:23], 0 offen lds               // 000000007A04: E0511000 8005002E
	s_add_u32 m0, 0x100, s50                                   // 000000007A0C: 807C32FF 00000100
	v_mfma_i32_16x16x32_i8 v[76:79], a[74:75], a[42:43], v[76:79]// 000000007A14: D3D7004C 1D32554A
	v_mfma_i32_16x16x32_i8 v[76:79], a[76:77], a[44:45], v[76:79]// 000000007A1C: D3D7004C 1D32594C
	buffer_load_dword v47, s[20:23], 0 offen lds               // 000000007A24: E0511000 8005002F
	s_add_u32 m0, 0x200, s50                                   // 000000007A2C: 807C32FF 00000200
	v_mfma_i32_16x16x32_i8 v[76:79], a[78:79], a[46:47], v[76:79]// 000000007A34: D3D7004C 1D325D4E
	v_mfma_i32_16x16x32_i8 v[64:67], a[64:65], a[48:49], v[64:67]// 000000007A3C: D3D70040 1D026140
	buffer_load_dword v48, s[20:23], 0 offen lds               // 000000007A44: E0511000 80050030
	s_add_u32 m0, 0x300, s50                                   // 000000007A4C: 807C32FF 00000300
	v_mfma_i32_16x16x32_i8 v[64:67], a[66:67], a[50:51], v[64:67]// 000000007A54: D3D70040 1D026542
	v_mfma_i32_16x16x32_i8 v[64:67], a[68:69], a[52:53], v[64:67]// 000000007A5C: D3D70040 1D026944
	buffer_load_dword v49, s[20:23], 0 offen lds               // 000000007A64: E0511000 80050031
	s_add_u32 m0, 0x400, s50                                   // 000000007A6C: 807C32FF 00000400
	v_mfma_i32_16x16x32_i8 v[64:67], a[70:71], a[54:55], v[64:67]// 000000007A74: D3D70040 1D026D46
	v_mfma_i32_16x16x32_i8 v[80:83], a[72:73], a[48:49], v[80:83]// 000000007A7C: D3D70050 1D426148
	buffer_load_dword v50, s[20:23], 0 offen lds               // 000000007A84: E0511000 80050032
	s_add_u32 m0, 0x500, s50                                   // 000000007A8C: 807C32FF 00000500
	v_mfma_i32_16x16x32_i8 v[80:83], a[74:75], a[50:51], v[80:83]// 000000007A94: D3D70050 1D42654A
	v_mfma_i32_16x16x32_i8 v[80:83], a[76:77], a[52:53], v[80:83]// 000000007A9C: D3D70050 1D42694C
	buffer_load_dword v51, s[20:23], 0 offen lds               // 000000007AA4: E0511000 80050033
	s_add_u32 m0, 0x600, s50                                   // 000000007AAC: 807C32FF 00000600
	v_mfma_i32_16x16x32_i8 v[80:83], a[78:79], a[54:55], v[80:83]// 000000007AB4: D3D70050 1D426D4E
	v_mfma_i32_16x16x32_i8 v[68:71], a[64:65], a[56:57], v[68:71]// 000000007ABC: D3D70044 1D127140
	buffer_load_dword v52, s[20:23], 0 offen lds               // 000000007AC4: E0511000 80050034
	s_add_u32 m0, 0x700, s50                                   // 000000007ACC: 807C32FF 00000700
	v_mfma_i32_16x16x32_i8 v[68:71], a[66:67], a[58:59], v[68:71]// 000000007AD4: D3D70044 1D127542
	v_mfma_i32_16x16x32_i8 v[68:71], a[68:69], a[60:61], v[68:71]// 000000007ADC: D3D70044 1D127944
	buffer_load_dword v53, s[20:23], 0 offen lds               // 000000007AE4: E0511000 80050035
	s_add_u32 m0, 0, s48                                       // 000000007AEC: 807C3080
	v_mfma_i32_16x16x32_i8 v[68:71], a[70:71], a[62:63], v[68:71]// 000000007AF0: D3D70044 1D127D46
	v_mfma_i32_16x16x32_i8 v[84:87], a[72:73], a[56:57], v[84:87]// 000000007AF8: D3D70054 1D527148
	v_mfma_i32_16x16x32_i8 v[84:87], a[74:75], a[58:59], v[84:87]// 000000007B00: D3D70054 1D52754A
	v_mfma_i32_16x16x32_i8 v[84:87], a[76:77], a[60:61], v[84:87]// 000000007B08: D3D70054 1D52794C
	v_mfma_i32_16x16x32_i8 v[84:87], a[78:79], a[62:63], v[84:87]// 000000007B10: D3D70054 1D527D4E
	s_waitcnt vmcnt(12)                                        // 000000007B18: BF8C0F7C
	s_barrier                                                  // 000000007B1C: BF8A0000
	v_mfma_i32_16x16x32_i8 v[88:91], a[80:81], a[32:33], v[88:91]// 000000007B20: D3D70058 1D624150
	buffer_load_dwordx4 a[64:67], v54, s[84:87], 0 offen       // 000000007B28: E05C1000 80954036
	v_mfma_i32_16x16x32_i8 v[88:91], a[82:83], a[34:35], v[88:91]// 000000007B30: D3D70058 1D624552
	v_mfma_i32_16x16x32_i8 v[88:91], a[84:85], a[36:37], v[88:91]// 000000007B38: D3D70058 1D624954
	ds_read_b128 a[0:3], v2 offset:8320                        // 000000007B40: DBFE2080 00000002
	ds_read_b128 a[4:7], v2 offset:8384                        // 000000007B48: DBFE20C0 04000002
	v_mfma_i32_16x16x32_i8 v[88:91], a[86:87], a[38:39], v[88:91]// 000000007B50: D3D70058 1D624D56
	v_mfma_i32_16x16x32_i8 v[104:107], a[88:89], a[32:33], v[104:107]// 000000007B58: D3D70068 1DA24158
	buffer_load_dwordx4 a[68:71], v54, s[84:87], 0 offen offset:1024// 000000007B60: E05C1400 80954436
	v_mfma_i32_16x16x32_i8 v[104:107], a[90:91], a[34:35], v[104:107]// 000000007B68: D3D70068 1DA2455A
	v_mfma_i32_16x16x32_i8 v[104:107], a[92:93], a[36:37], v[104:107]// 000000007B70: D3D70068 1DA2495C
	ds_read_b128 a[8:11], v2 offset:8832                       // 000000007B78: DBFE2280 08000002
	ds_read_b128 a[12:15], v2 offset:8896                      // 000000007B80: DBFE22C0 0C000002
	v_mfma_i32_16x16x32_i8 v[104:107], a[94:95], a[38:39], v[104:107]// 000000007B88: D3D70068 1DA24D5E
	v_mfma_i32_16x16x32_i8 v[92:95], a[80:81], a[40:41], v[92:95]// 000000007B90: D3D7005C 1D725150
	buffer_load_dwordx4 a[72:75], v55, s[84:87], 0 offen       // 000000007B98: E05C1000 80954837
	v_mfma_i32_16x16x32_i8 v[92:95], a[82:83], a[42:43], v[92:95]// 000000007BA0: D3D7005C 1D725552
	v_mfma_i32_16x16x32_i8 v[92:95], a[84:85], a[44:45], v[92:95]// 000000007BA8: D3D7005C 1D725954
	ds_read_b128 a[16:19], v2 offset:9344                      // 000000007BB0: DBFE2480 10000002
	ds_read_b128 a[20:23], v2 offset:9408                      // 000000007BB8: DBFE24C0 14000002
	v_mfma_i32_16x16x32_i8 v[92:95], a[86:87], a[46:47], v[92:95]// 000000007BC0: D3D7005C 1D725D56
	v_mfma_i32_16x16x32_i8 v[108:111], a[88:89], a[40:41], v[108:111]// 000000007BC8: D3D7006C 1DB25158
	buffer_load_dwordx4 a[76:79], v55, s[84:87], 0 offen offset:1024// 000000007BD0: E05C1400 80954C37
	v_mfma_i32_16x16x32_i8 v[108:111], a[90:91], a[42:43], v[108:111]// 000000007BD8: D3D7006C 1DB2555A
	v_mfma_i32_16x16x32_i8 v[108:111], a[92:93], a[44:45], v[108:111]// 000000007BE0: D3D7006C 1DB2595C
	ds_read_b128 a[24:27], v2 offset:9856                      // 000000007BE8: DBFE2680 18000002
	ds_read_b128 a[28:31], v2 offset:9920                      // 000000007BF0: DBFE26C0 1C000002
	v_mfma_i32_16x16x32_i8 v[108:111], a[94:95], a[46:47], v[108:111]// 000000007BF8: D3D7006C 1DB25D5E
	v_mfma_i32_16x16x32_i8 v[96:99], a[80:81], a[48:49], v[96:99]// 000000007C00: D3D70060 1D826150
	v_mfma_i32_16x16x32_i8 v[96:99], a[82:83], a[50:51], v[96:99]// 000000007C08: D3D70060 1D826552
	v_mfma_i32_16x16x32_i8 v[96:99], a[84:85], a[52:53], v[96:99]// 000000007C10: D3D70060 1D826954
	v_mfma_i32_16x16x32_i8 v[96:99], a[86:87], a[54:55], v[96:99]// 000000007C18: D3D70060 1D826D56
	v_mfma_i32_16x16x32_i8 v[112:115], a[88:89], a[48:49], v[112:115]// 000000007C20: D3D70070 1DC26158
	v_mfma_i32_16x16x32_i8 v[112:115], a[90:91], a[50:51], v[112:115]// 000000007C28: D3D70070 1DC2655A
	v_mfma_i32_16x16x32_i8 v[112:115], a[92:93], a[52:53], v[112:115]// 000000007C30: D3D70070 1DC2695C
	v_mfma_i32_16x16x32_i8 v[112:115], a[94:95], a[54:55], v[112:115]// 000000007C38: D3D70070 1DC26D5E
	v_mfma_i32_16x16x32_i8 v[100:103], a[80:81], a[56:57], v[100:103]// 000000007C40: D3D70064 1D927150
	s_add_u32 s60, 0x180, s80                                  // 000000007C48: 803C50FF 00000180
	s_cmp_lt_u32 s60, s81                                      // 000000007C50: BF0A513C
	s_cselect_b32 s57, s57, 0                                  // 000000007C54: 85398039
	v_mfma_i32_16x16x32_i8 v[100:103], a[82:83], a[58:59], v[100:103]// 000000007C58: D3D70064 1D927552
	s_add_u32 s60, 0x100, s80                                  // 000000007C60: 803C50FF 00000100
	s_cmp_lt_u32 s60, s81                                      // 000000007C68: BF0A513C
	s_cselect_b32 s58, s58, 0                                  // 000000007C6C: 853A803A
	v_mfma_i32_16x16x32_i8 v[100:103], a[84:85], a[60:61], v[100:103]// 000000007C70: D3D70064 1D927954
	s_add_u32 s60, 0x100, s80                                  // 000000007C78: 803C50FF 00000100
	s_cmp_lt_u32 s60, s81                                      // 000000007C80: BF0A513C
	s_cselect_b32 s83, s83, 0                                  // 000000007C84: 85538053
	v_mfma_i32_16x16x32_i8 v[100:103], a[86:87], a[62:63], v[100:103]// 000000007C88: D3D70064 1D927D56
	s_add_u32 s24, s58, s24                                    // 000000007C90: 8018183A
	s_addc_u32 s25, 0, s25                                     // 000000007C94: 82191980
	v_mfma_i32_16x16x32_i8 v[116:119], a[88:89], a[56:57], v[116:119]// 000000007C98: D3D70074 1DD27158
	s_add_u32 s20, s57, s20                                    // 000000007CA0: 80141439
	s_addc_u32 s21, 0, s21                                     // 000000007CA4: 82151580
	v_mfma_i32_16x16x32_i8 v[116:119], a[90:91], a[58:59], v[116:119]// 000000007CA8: D3D70074 1DD2755A
	s_add_u32 s84, s83, s84                                    // 000000007CB0: 80545453
	s_addc_u32 s85, 0, s85                                     // 000000007CB4: 82555580
	v_mfma_i32_16x16x32_i8 v[116:119], a[92:93], a[60:61], v[116:119]// 000000007CB8: D3D70074 1DD2795C
	v_mfma_i32_16x16x32_i8 v[116:119], a[94:95], a[62:63], v[116:119]// 000000007CC0: D3D70074 1DD27D5E
	s_addk_i32 s80, 0x80                                       // 000000007CC8: B7500080
	s_cmp_lt_i32 s80, s81                                      // 000000007CCC: BF045150
	s_cbranch_scc0 label_1667                                  // 000000007CD0: BF8401AF
	s_waitcnt vmcnt(12) lgkmcnt(0)                             // 000000007CD4: BF8C007C
	v_mfma_i32_16x16x32_i8 v[56:59], a[96:97], a[0:1], v[56:59]// 000000007CD8: D3D70038 1CE20160
	buffer_load_dwordx4 a[80:83], v54, s[24:27], 0 offen       // 000000007CE0: E05C1000 80865036
	v_mfma_i32_16x16x32_i8 v[56:59], a[98:99], a[2:3], v[56:59]// 000000007CE8: D3D70038 1CE20562
	v_mfma_i32_16x16x32_i8 v[56:59], a[100:101], a[4:5], v[56:59]// 000000007CF0: D3D70038 1CE20964
	v_mfma_i32_16x16x32_i8 v[56:59], a[102:103], a[6:7], v[56:59]// 000000007CF8: D3D70038 1CE20D66
	v_mfma_i32_16x16x32_i8 v[72:75], a[104:105], a[0:1], v[72:75]// 000000007D00: D3D70048 1D220168
	buffer_load_dwordx4 a[84:87], v54, s[24:27], 0 offen offset:1024// 000000007D08: E05C1400 80865436
	v_mfma_i32_16x16x32_i8 v[72:75], a[106:107], a[2:3], v[72:75]// 000000007D10: D3D70048 1D22056A
	v_mfma_i32_16x16x32_i8 v[72:75], a[108:109], a[4:5], v[72:75]// 000000007D18: D3D70048 1D22096C
	v_mfma_i32_16x16x32_i8 v[72:75], a[110:111], a[6:7], v[72:75]// 000000007D20: D3D70048 1D220D6E
	v_mfma_i32_16x16x32_i8 v[60:63], a[96:97], a[8:9], v[60:63]// 000000007D28: D3D7003C 1CF21160
	buffer_load_dwordx4 a[88:91], v55, s[24:27], 0 offen       // 000000007D30: E05C1000 80865837
	v_mfma_i32_16x16x32_i8 v[60:63], a[98:99], a[10:11], v[60:63]// 000000007D38: D3D7003C 1CF21562
	v_mfma_i32_16x16x32_i8 v[60:63], a[100:101], a[12:13], v[60:63]// 000000007D40: D3D7003C 1CF21964
	v_mfma_i32_16x16x32_i8 v[60:63], a[102:103], a[14:15], v[60:63]// 000000007D48: D3D7003C 1CF21D66
	v_mfma_i32_16x16x32_i8 v[76:79], a[104:105], a[8:9], v[76:79]// 000000007D50: D3D7004C 1D321168
	buffer_load_dwordx4 a[92:95], v55, s[24:27], 0 offen offset:1024// 000000007D58: E05C1400 80865C37
	buffer_load_dword v46, s[20:23], 0 offen lds               // 000000007D60: E0511000 8005002E
	s_add_u32 m0, 0x100, s48                                   // 000000007D68: 807C30FF 00000100
	v_mfma_i32_16x16x32_i8 v[76:79], a[106:107], a[10:11], v[76:79]// 000000007D70: D3D7004C 1D32156A
	v_mfma_i32_16x16x32_i8 v[76:79], a[108:109], a[12:13], v[76:79]// 000000007D78: D3D7004C 1D32196C
	buffer_load_dword v47, s[20:23], 0 offen lds               // 000000007D80: E0511000 8005002F
	s_add_u32 m0, 0x200, s48                                   // 000000007D88: 807C30FF 00000200
	v_mfma_i32_16x16x32_i8 v[76:79], a[110:111], a[14:15], v[76:79]// 000000007D90: D3D7004C 1D321D6E
	v_mfma_i32_16x16x32_i8 v[64:67], a[96:97], a[16:17], v[64:67]// 000000007D98: D3D70040 1D022160
	buffer_load_dword v48, s[20:23], 0 offen lds               // 000000007DA0: E0511000 80050030
	s_add_u32 m0, 0x300, s48                                   // 000000007DA8: 807C30FF 00000300
	v_mfma_i32_16x16x32_i8 v[64:67], a[98:99], a[18:19], v[64:67]// 000000007DB0: D3D70040 1D022562
	v_mfma_i32_16x16x32_i8 v[64:67], a[100:101], a[20:21], v[64:67]// 000000007DB8: D3D70040 1D022964
	buffer_load_dword v49, s[20:23], 0 offen lds               // 000000007DC0: E0511000 80050031
	s_add_u32 m0, 0x400, s48                                   // 000000007DC8: 807C30FF 00000400
	v_mfma_i32_16x16x32_i8 v[64:67], a[102:103], a[22:23], v[64:67]// 000000007DD0: D3D70040 1D022D66
	v_mfma_i32_16x16x32_i8 v[80:83], a[104:105], a[16:17], v[80:83]// 000000007DD8: D3D70050 1D422168
	buffer_load_dword v50, s[20:23], 0 offen lds               // 000000007DE0: E0511000 80050032
	s_add_u32 m0, 0x500, s48                                   // 000000007DE8: 807C30FF 00000500
	v_mfma_i32_16x16x32_i8 v[80:83], a[106:107], a[18:19], v[80:83]// 000000007DF0: D3D70050 1D42256A
	v_mfma_i32_16x16x32_i8 v[80:83], a[108:109], a[20:21], v[80:83]// 000000007DF8: D3D70050 1D42296C
	buffer_load_dword v51, s[20:23], 0 offen lds               // 000000007E00: E0511000 80050033
	s_add_u32 m0, 0x600, s48                                   // 000000007E08: 807C30FF 00000600
	v_mfma_i32_16x16x32_i8 v[80:83], a[110:111], a[22:23], v[80:83]// 000000007E10: D3D70050 1D422D6E
	v_mfma_i32_16x16x32_i8 v[68:71], a[96:97], a[24:25], v[68:71]// 000000007E18: D3D70044 1D123160
	buffer_load_dword v52, s[20:23], 0 offen lds               // 000000007E20: E0511000 80050034
	s_add_u32 m0, 0x700, s48                                   // 000000007E28: 807C30FF 00000700
	v_mfma_i32_16x16x32_i8 v[68:71], a[98:99], a[26:27], v[68:71]// 000000007E30: D3D70044 1D123562
	v_mfma_i32_16x16x32_i8 v[68:71], a[100:101], a[28:29], v[68:71]// 000000007E38: D3D70044 1D123964
	buffer_load_dword v53, s[20:23], 0 offen lds               // 000000007E40: E0511000 80050035
	s_add_u32 m0, 0, s49                                       // 000000007E48: 807C3180
	v_mfma_i32_16x16x32_i8 v[68:71], a[102:103], a[30:31], v[68:71]// 000000007E4C: D3D70044 1D123D66
	v_mfma_i32_16x16x32_i8 v[84:87], a[104:105], a[24:25], v[84:87]// 000000007E54: D3D70054 1D523168
	v_mfma_i32_16x16x32_i8 v[84:87], a[106:107], a[26:27], v[84:87]// 000000007E5C: D3D70054 1D52356A
	v_mfma_i32_16x16x32_i8 v[84:87], a[108:109], a[28:29], v[84:87]// 000000007E64: D3D70054 1D52396C
	v_mfma_i32_16x16x32_i8 v[84:87], a[110:111], a[30:31], v[84:87]// 000000007E6C: D3D70054 1D523D6E
	s_waitcnt vmcnt(12)                                        // 000000007E74: BF8C0F7C
	s_barrier                                                  // 000000007E78: BF8A0000
	v_mfma_i32_16x16x32_i8 v[88:91], a[64:65], a[0:1], v[88:91]// 000000007E7C: D3D70058 1D620140
	buffer_load_dwordx4 a[96:99], v54, s[84:87], 0 offen       // 000000007E84: E05C1000 80956036
	v_mfma_i32_16x16x32_i8 v[88:91], a[66:67], a[2:3], v[88:91]// 000000007E8C: D3D70058 1D620542
	v_mfma_i32_16x16x32_i8 v[88:91], a[68:69], a[4:5], v[88:91]// 000000007E94: D3D70058 1D620944
	ds_read_b128 a[32:35], v2 offset:16640                     // 000000007E9C: DBFE4100 20000002
	ds_read_b128 a[36:39], v2 offset:16704                     // 000000007EA4: DBFE4140 24000002
	v_mfma_i32_16x16x32_i8 v[88:91], a[70:71], a[6:7], v[88:91]// 000000007EAC: D3D70058 1D620D46
	v_mfma_i32_16x16x32_i8 v[104:107], a[72:73], a[0:1], v[104:107]// 000000007EB4: D3D70068 1DA20148
	buffer_load_dwordx4 a[100:103], v54, s[84:87], 0 offen offset:1024// 000000007EBC: E05C1400 80956436
	v_mfma_i32_16x16x32_i8 v[104:107], a[74:75], a[2:3], v[104:107]// 000000007EC4: D3D70068 1DA2054A
	v_mfma_i32_16x16x32_i8 v[104:107], a[76:77], a[4:5], v[104:107]// 000000007ECC: D3D70068 1DA2094C
	ds_read_b128 a[40:43], v2 offset:17152                     // 000000007ED4: DBFE4300 28000002
	ds_read_b128 a[44:47], v2 offset:17216                     // 000000007EDC: DBFE4340 2C000002
	v_mfma_i32_16x16x32_i8 v[104:107], a[78:79], a[6:7], v[104:107]// 000000007EE4: D3D70068 1DA20D4E
	v_mfma_i32_16x16x32_i8 v[92:95], a[64:65], a[8:9], v[92:95]// 000000007EEC: D3D7005C 1D721140
	buffer_load_dwordx4 a[104:107], v55, s[84:87], 0 offen     // 000000007EF4: E05C1000 80956837
	v_mfma_i32_16x16x32_i8 v[92:95], a[66:67], a[10:11], v[92:95]// 000000007EFC: D3D7005C 1D721542
	v_mfma_i32_16x16x32_i8 v[92:95], a[68:69], a[12:13], v[92:95]// 000000007F04: D3D7005C 1D721944
	ds_read_b128 a[48:51], v2 offset:17664                     // 000000007F0C: DBFE4500 30000002
	ds_read_b128 a[52:55], v2 offset:17728                     // 000000007F14: DBFE4540 34000002
	v_mfma_i32_16x16x32_i8 v[92:95], a[70:71], a[14:15], v[92:95]// 000000007F1C: D3D7005C 1D721D46
	v_mfma_i32_16x16x32_i8 v[108:111], a[72:73], a[8:9], v[108:111]// 000000007F24: D3D7006C 1DB21148
	buffer_load_dwordx4 a[108:111], v55, s[84:87], 0 offen offset:1024// 000000007F2C: E05C1400 80956C37
	v_mfma_i32_16x16x32_i8 v[108:111], a[74:75], a[10:11], v[108:111]// 000000007F34: D3D7006C 1DB2154A
	v_mfma_i32_16x16x32_i8 v[108:111], a[76:77], a[12:13], v[108:111]// 000000007F3C: D3D7006C 1DB2194C
	ds_read_b128 a[56:59], v2 offset:18176                     // 000000007F44: DBFE4700 38000002
	ds_read_b128 a[60:63], v2 offset:18240                     // 000000007F4C: DBFE4740 3C000002
	v_mfma_i32_16x16x32_i8 v[108:111], a[78:79], a[14:15], v[108:111]// 000000007F54: D3D7006C 1DB21D4E
	v_mfma_i32_16x16x32_i8 v[96:99], a[64:65], a[16:17], v[96:99]// 000000007F5C: D3D70060 1D822140
	v_mfma_i32_16x16x32_i8 v[96:99], a[66:67], a[18:19], v[96:99]// 000000007F64: D3D70060 1D822542
	v_mfma_i32_16x16x32_i8 v[96:99], a[68:69], a[20:21], v[96:99]// 000000007F6C: D3D70060 1D822944
	v_mfma_i32_16x16x32_i8 v[96:99], a[70:71], a[22:23], v[96:99]// 000000007F74: D3D70060 1D822D46
	v_mfma_i32_16x16x32_i8 v[112:115], a[72:73], a[16:17], v[112:115]// 000000007F7C: D3D70070 1DC22148
	v_mfma_i32_16x16x32_i8 v[112:115], a[74:75], a[18:19], v[112:115]// 000000007F84: D3D70070 1DC2254A
	v_mfma_i32_16x16x32_i8 v[112:115], a[76:77], a[20:21], v[112:115]// 000000007F8C: D3D70070 1DC2294C
	v_mfma_i32_16x16x32_i8 v[112:115], a[78:79], a[22:23], v[112:115]// 000000007F94: D3D70070 1DC22D4E
	v_mfma_i32_16x16x32_i8 v[100:103], a[64:65], a[24:25], v[100:103]// 000000007F9C: D3D70064 1D923140
	s_add_u32 s60, 0x180, s80                                  // 000000007FA4: 803C50FF 00000180
	s_cmp_lt_u32 s60, s81                                      // 000000007FAC: BF0A513C
	s_cselect_b32 s57, s57, 0                                  // 000000007FB0: 85398039
	v_mfma_i32_16x16x32_i8 v[100:103], a[66:67], a[26:27], v[100:103]// 000000007FB4: D3D70064 1D923542
	s_add_u32 s60, 0x100, s80                                  // 000000007FBC: 803C50FF 00000100
	s_cmp_lt_u32 s60, s81                                      // 000000007FC4: BF0A513C
	s_cselect_b32 s58, s58, 0                                  // 000000007FC8: 853A803A
	v_mfma_i32_16x16x32_i8 v[100:103], a[68:69], a[28:29], v[100:103]// 000000007FCC: D3D70064 1D923944
	s_add_u32 s60, 0x100, s80                                  // 000000007FD4: 803C50FF 00000100
	s_cmp_lt_u32 s60, s81                                      // 000000007FDC: BF0A513C
	s_cselect_b32 s83, s83, 0                                  // 000000007FE0: 85538053
	v_mfma_i32_16x16x32_i8 v[100:103], a[70:71], a[30:31], v[100:103]// 000000007FE4: D3D70064 1D923D46
	s_add_u32 s24, s58, s24                                    // 000000007FEC: 8018183A
	s_addc_u32 s25, 0, s25                                     // 000000007FF0: 82191980
	v_mfma_i32_16x16x32_i8 v[116:119], a[72:73], a[24:25], v[116:119]// 000000007FF4: D3D70074 1DD23148
	s_add_u32 s20, s57, s20                                    // 000000007FFC: 80141439
	s_addc_u32 s21, 0, s21                                     // 000000008000: 82151580
	v_mfma_i32_16x16x32_i8 v[116:119], a[74:75], a[26:27], v[116:119]// 000000008004: D3D70074 1DD2354A
	s_add_u32 s84, s83, s84                                    // 00000000800C: 80545453
	s_addc_u32 s85, 0, s85                                     // 000000008010: 82555580
	v_mfma_i32_16x16x32_i8 v[116:119], a[76:77], a[28:29], v[116:119]// 000000008014: D3D70074 1DD2394C
	v_mfma_i32_16x16x32_i8 v[116:119], a[78:79], a[30:31], v[116:119]// 00000000801C: D3D70074 1DD23D4E
	s_addk_i32 s80, 0x80                                       // 000000008024: B7500080
	s_cmp_lt_i32 s80, s81                                      // 000000008028: BF045150
	s_cbranch_scc0 label_1667                                  // 00000000802C: BF8400D8
	s_waitcnt vmcnt(12) lgkmcnt(0)                             // 000000008030: BF8C007C
	v_mfma_i32_16x16x32_i8 v[56:59], a[80:81], a[32:33], v[56:59]// 000000008034: D3D70038 1CE24150
	buffer_load_dwordx4 a[64:67], v54, s[24:27], 0 offen       // 00000000803C: E05C1000 80864036
	v_mfma_i32_16x16x32_i8 v[56:59], a[82:83], a[34:35], v[56:59]// 000000008044: D3D70038 1CE24552
	v_mfma_i32_16x16x32_i8 v[56:59], a[84:85], a[36:37], v[56:59]// 00000000804C: D3D70038 1CE24954
	v_mfma_i32_16x16x32_i8 v[56:59], a[86:87], a[38:39], v[56:59]// 000000008054: D3D70038 1CE24D56
	v_mfma_i32_16x16x32_i8 v[72:75], a[88:89], a[32:33], v[72:75]// 00000000805C: D3D70048 1D224158
	buffer_load_dwordx4 a[68:71], v54, s[24:27], 0 offen offset:1024// 000000008064: E05C1400 80864436
	v_mfma_i32_16x16x32_i8 v[72:75], a[90:91], a[34:35], v[72:75]// 00000000806C: D3D70048 1D22455A
	v_mfma_i32_16x16x32_i8 v[72:75], a[92:93], a[36:37], v[72:75]// 000000008074: D3D70048 1D22495C
	v_mfma_i32_16x16x32_i8 v[72:75], a[94:95], a[38:39], v[72:75]// 00000000807C: D3D70048 1D224D5E
	v_mfma_i32_16x16x32_i8 v[60:63], a[80:81], a[40:41], v[60:63]// 000000008084: D3D7003C 1CF25150
	buffer_load_dwordx4 a[72:75], v55, s[24:27], 0 offen       // 00000000808C: E05C1000 80864837
	v_mfma_i32_16x16x32_i8 v[60:63], a[82:83], a[42:43], v[60:63]// 000000008094: D3D7003C 1CF25552
	v_mfma_i32_16x16x32_i8 v[60:63], a[84:85], a[44:45], v[60:63]// 00000000809C: D3D7003C 1CF25954
	v_mfma_i32_16x16x32_i8 v[60:63], a[86:87], a[46:47], v[60:63]// 0000000080A4: D3D7003C 1CF25D56
	v_mfma_i32_16x16x32_i8 v[76:79], a[88:89], a[40:41], v[76:79]// 0000000080AC: D3D7004C 1D325158
	buffer_load_dwordx4 a[76:79], v55, s[24:27], 0 offen offset:1024// 0000000080B4: E05C1400 80864C37
	buffer_load_dword v46, s[20:23], 0 offen lds               // 0000000080BC: E0511000 8005002E
	s_add_u32 m0, 0x100, s49                                   // 0000000080C4: 807C31FF 00000100
	v_mfma_i32_16x16x32_i8 v[76:79], a[90:91], a[42:43], v[76:79]// 0000000080CC: D3D7004C 1D32555A
	v_mfma_i32_16x16x32_i8 v[76:79], a[92:93], a[44:45], v[76:79]// 0000000080D4: D3D7004C 1D32595C
	buffer_load_dword v47, s[20:23], 0 offen lds               // 0000000080DC: E0511000 8005002F
	s_add_u32 m0, 0x200, s49                                   // 0000000080E4: 807C31FF 00000200
	v_mfma_i32_16x16x32_i8 v[76:79], a[94:95], a[46:47], v[76:79]// 0000000080EC: D3D7004C 1D325D5E
	v_mfma_i32_16x16x32_i8 v[64:67], a[80:81], a[48:49], v[64:67]// 0000000080F4: D3D70040 1D026150
	buffer_load_dword v48, s[20:23], 0 offen lds               // 0000000080FC: E0511000 80050030
	s_add_u32 m0, 0x300, s49                                   // 000000008104: 807C31FF 00000300
	v_mfma_i32_16x16x32_i8 v[64:67], a[82:83], a[50:51], v[64:67]// 00000000810C: D3D70040 1D026552
	v_mfma_i32_16x16x32_i8 v[64:67], a[84:85], a[52:53], v[64:67]// 000000008114: D3D70040 1D026954
	buffer_load_dword v49, s[20:23], 0 offen lds               // 00000000811C: E0511000 80050031
	s_add_u32 m0, 0x400, s49                                   // 000000008124: 807C31FF 00000400
	v_mfma_i32_16x16x32_i8 v[64:67], a[86:87], a[54:55], v[64:67]// 00000000812C: D3D70040 1D026D56
	v_mfma_i32_16x16x32_i8 v[80:83], a[88:89], a[48:49], v[80:83]// 000000008134: D3D70050 1D426158
	buffer_load_dword v50, s[20:23], 0 offen lds               // 00000000813C: E0511000 80050032
	s_add_u32 m0, 0x500, s49                                   // 000000008144: 807C31FF 00000500
	v_mfma_i32_16x16x32_i8 v[80:83], a[90:91], a[50:51], v[80:83]// 00000000814C: D3D70050 1D42655A
	v_mfma_i32_16x16x32_i8 v[80:83], a[92:93], a[52:53], v[80:83]// 000000008154: D3D70050 1D42695C
	buffer_load_dword v51, s[20:23], 0 offen lds               // 00000000815C: E0511000 80050033
	s_add_u32 m0, 0x600, s49                                   // 000000008164: 807C31FF 00000600
	v_mfma_i32_16x16x32_i8 v[80:83], a[94:95], a[54:55], v[80:83]// 00000000816C: D3D70050 1D426D5E
	v_mfma_i32_16x16x32_i8 v[68:71], a[80:81], a[56:57], v[68:71]// 000000008174: D3D70044 1D127150
	buffer_load_dword v52, s[20:23], 0 offen lds               // 00000000817C: E0511000 80050034
	s_add_u32 m0, 0x700, s49                                   // 000000008184: 807C31FF 00000700
	v_mfma_i32_16x16x32_i8 v[68:71], a[82:83], a[58:59], v[68:71]// 00000000818C: D3D70044 1D127552
	v_mfma_i32_16x16x32_i8 v[68:71], a[84:85], a[60:61], v[68:71]// 000000008194: D3D70044 1D127954
	buffer_load_dword v53, s[20:23], 0 offen lds               // 00000000819C: E0511000 80050035
	s_add_u32 m0, 0, s50                                       // 0000000081A4: 807C3280
	v_mfma_i32_16x16x32_i8 v[68:71], a[86:87], a[62:63], v[68:71]// 0000000081A8: D3D70044 1D127D56
	v_mfma_i32_16x16x32_i8 v[84:87], a[88:89], a[56:57], v[84:87]// 0000000081B0: D3D70054 1D527158
	v_mfma_i32_16x16x32_i8 v[84:87], a[90:91], a[58:59], v[84:87]// 0000000081B8: D3D70054 1D52755A
	v_mfma_i32_16x16x32_i8 v[84:87], a[92:93], a[60:61], v[84:87]// 0000000081C0: D3D70054 1D52795C
	v_mfma_i32_16x16x32_i8 v[84:87], a[94:95], a[62:63], v[84:87]// 0000000081C8: D3D70054 1D527D5E
	s_waitcnt vmcnt(12)                                        // 0000000081D0: BF8C0F7C
	s_barrier                                                  // 0000000081D4: BF8A0000
	v_mfma_i32_16x16x32_i8 v[88:91], a[96:97], a[32:33], v[88:91]// 0000000081D8: D3D70058 1D624160
	buffer_load_dwordx4 a[80:83], v54, s[84:87], 0 offen       // 0000000081E0: E05C1000 80955036
	v_mfma_i32_16x16x32_i8 v[88:91], a[98:99], a[34:35], v[88:91]// 0000000081E8: D3D70058 1D624562
	v_mfma_i32_16x16x32_i8 v[88:91], a[100:101], a[36:37], v[88:91]// 0000000081F0: D3D70058 1D624964
	ds_read_b128 a[0:3], v2                                    // 0000000081F8: DBFE0000 00000002
	ds_read_b128 a[4:7], v2 offset:64                          // 000000008200: DBFE0040 04000002
	v_mfma_i32_16x16x32_i8 v[88:91], a[102:103], a[38:39], v[88:91]// 000000008208: D3D70058 1D624D66
	v_mfma_i32_16x16x32_i8 v[104:107], a[104:105], a[32:33], v[104:107]// 000000008210: D3D70068 1DA24168
	buffer_load_dwordx4 a[84:87], v54, s[84:87], 0 offen offset:1024// 000000008218: E05C1400 80955436
	v_mfma_i32_16x16x32_i8 v[104:107], a[106:107], a[34:35], v[104:107]// 000000008220: D3D70068 1DA2456A
	v_mfma_i32_16x16x32_i8 v[104:107], a[108:109], a[36:37], v[104:107]// 000000008228: D3D70068 1DA2496C
	ds_read_b128 a[8:11], v2 offset:512                        // 000000008230: DBFE0200 08000002
	ds_read_b128 a[12:15], v2 offset:576                       // 000000008238: DBFE0240 0C000002
	v_mfma_i32_16x16x32_i8 v[104:107], a[110:111], a[38:39], v[104:107]// 000000008240: D3D70068 1DA24D6E
	v_mfma_i32_16x16x32_i8 v[92:95], a[96:97], a[40:41], v[92:95]// 000000008248: D3D7005C 1D725160
	buffer_load_dwordx4 a[88:91], v55, s[84:87], 0 offen       // 000000008250: E05C1000 80955837
	v_mfma_i32_16x16x32_i8 v[92:95], a[98:99], a[42:43], v[92:95]// 000000008258: D3D7005C 1D725562
	v_mfma_i32_16x16x32_i8 v[92:95], a[100:101], a[44:45], v[92:95]// 000000008260: D3D7005C 1D725964
	ds_read_b128 a[16:19], v2 offset:1024                      // 000000008268: DBFE0400 10000002
	ds_read_b128 a[20:23], v2 offset:1088                      // 000000008270: DBFE0440 14000002
	v_mfma_i32_16x16x32_i8 v[92:95], a[102:103], a[46:47], v[92:95]// 000000008278: D3D7005C 1D725D66
	v_mfma_i32_16x16x32_i8 v[108:111], a[104:105], a[40:41], v[108:111]// 000000008280: D3D7006C 1DB25168
	buffer_load_dwordx4 a[92:95], v55, s[84:87], 0 offen offset:1024// 000000008288: E05C1400 80955C37
	v_mfma_i32_16x16x32_i8 v[108:111], a[106:107], a[42:43], v[108:111]// 000000008290: D3D7006C 1DB2556A
	v_mfma_i32_16x16x32_i8 v[108:111], a[108:109], a[44:45], v[108:111]// 000000008298: D3D7006C 1DB2596C
	ds_read_b128 a[24:27], v2 offset:1536                      // 0000000082A0: DBFE0600 18000002
	ds_read_b128 a[28:31], v2 offset:1600                      // 0000000082A8: DBFE0640 1C000002
	v_mfma_i32_16x16x32_i8 v[108:111], a[110:111], a[46:47], v[108:111]// 0000000082B0: D3D7006C 1DB25D6E
	v_mfma_i32_16x16x32_i8 v[96:99], a[96:97], a[48:49], v[96:99]// 0000000082B8: D3D70060 1D826160
	v_mfma_i32_16x16x32_i8 v[96:99], a[98:99], a[50:51], v[96:99]// 0000000082C0: D3D70060 1D826562
	v_mfma_i32_16x16x32_i8 v[96:99], a[100:101], a[52:53], v[96:99]// 0000000082C8: D3D70060 1D826964
	v_mfma_i32_16x16x32_i8 v[96:99], a[102:103], a[54:55], v[96:99]// 0000000082D0: D3D70060 1D826D66
	v_mfma_i32_16x16x32_i8 v[112:115], a[104:105], a[48:49], v[112:115]// 0000000082D8: D3D70070 1DC26168
	v_mfma_i32_16x16x32_i8 v[112:115], a[106:107], a[50:51], v[112:115]// 0000000082E0: D3D70070 1DC2656A
	v_mfma_i32_16x16x32_i8 v[112:115], a[108:109], a[52:53], v[112:115]// 0000000082E8: D3D70070 1DC2696C
	v_mfma_i32_16x16x32_i8 v[112:115], a[110:111], a[54:55], v[112:115]// 0000000082F0: D3D70070 1DC26D6E
	v_mfma_i32_16x16x32_i8 v[100:103], a[96:97], a[56:57], v[100:103]// 0000000082F8: D3D70064 1D927160
	s_add_u32 s60, 0x180, s80                                  // 000000008300: 803C50FF 00000180
	s_cmp_lt_u32 s60, s81                                      // 000000008308: BF0A513C
	s_cselect_b32 s57, s57, 0                                  // 00000000830C: 85398039
	v_mfma_i32_16x16x32_i8 v[100:103], a[98:99], a[58:59], v[100:103]// 000000008310: D3D70064 1D927562
	s_add_u32 s60, 0x100, s80                                  // 000000008318: 803C50FF 00000100
	s_cmp_lt_u32 s60, s81                                      // 000000008320: BF0A513C
	s_cselect_b32 s58, s58, 0                                  // 000000008324: 853A803A
	v_mfma_i32_16x16x32_i8 v[100:103], a[100:101], a[60:61], v[100:103]// 000000008328: D3D70064 1D927964
	s_add_u32 s60, 0x100, s80                                  // 000000008330: 803C50FF 00000100
	s_cmp_lt_u32 s60, s81                                      // 000000008338: BF0A513C
	s_cselect_b32 s83, s83, 0                                  // 00000000833C: 85538053
	v_mfma_i32_16x16x32_i8 v[100:103], a[102:103], a[62:63], v[100:103]// 000000008340: D3D70064 1D927D66
	s_add_u32 s24, s58, s24                                    // 000000008348: 8018183A
	s_addc_u32 s25, 0, s25                                     // 00000000834C: 82191980
	v_mfma_i32_16x16x32_i8 v[116:119], a[104:105], a[56:57], v[116:119]// 000000008350: D3D70074 1DD27168
	s_add_u32 s20, s57, s20                                    // 000000008358: 80141439
	s_addc_u32 s21, 0, s21                                     // 00000000835C: 82151580
	v_mfma_i32_16x16x32_i8 v[116:119], a[106:107], a[58:59], v[116:119]// 000000008360: D3D70074 1DD2756A
	s_add_u32 s84, s83, s84                                    // 000000008368: 80545453
	s_addc_u32 s85, 0, s85                                     // 00000000836C: 82555580
	v_mfma_i32_16x16x32_i8 v[116:119], a[108:109], a[60:61], v[116:119]// 000000008370: D3D70074 1DD2796C
	v_mfma_i32_16x16x32_i8 v[116:119], a[110:111], a[62:63], v[116:119]// 000000008378: D3D70074 1DD27D6E
	s_addk_i32 s80, 0x80                                       // 000000008380: B7500080
	s_cmp_lt_i32 s80, s81                                      // 000000008384: BF045150
	s_cbranch_scc0 label_1667                                  // 000000008388: BF840001
	s_branch label_115C                                        // 00000000838C: BF82FAF5

0000000000008390 <label_1667>:
	v_cvt_f32_i32_e32 v56, v56                                 // 000000008390: 7E700B38
	v_cvt_f32_i32_e32 v57, v57                                 // 000000008394: 7E720B39
	v_cvt_f32_i32_e32 v58, v58                                 // 000000008398: 7E740B3A
	v_cvt_f32_i32_e32 v59, v59                                 // 00000000839C: 7E760B3B
	v_mul_f32_dpp v56, v24, v56 row_newbcast:0 row_mask:0xf bank_mask:0xf// 0000000083A0: 0A7070FA FF015018
	v_mul_f32_dpp v57, v24, v57 row_newbcast:1 row_mask:0xf bank_mask:0xf// 0000000083A8: 0A7272FA FF015118
	v_mul_f32_dpp v58, v24, v58 row_newbcast:2 row_mask:0xf bank_mask:0xf// 0000000083B0: 0A7474FA FF015218
	v_mul_f32_dpp v59, v24, v59 row_newbcast:3 row_mask:0xf bank_mask:0xf// 0000000083B8: 0A7676FA FF015318
	v_cvt_f32_i32_e32 v60, v60                                 // 0000000083C0: 7E780B3C
	v_cvt_f32_i32_e32 v61, v61                                 // 0000000083C4: 7E7A0B3D
	v_cvt_f32_i32_e32 v62, v62                                 // 0000000083C8: 7E7C0B3E
	v_cvt_f32_i32_e32 v63, v63                                 // 0000000083CC: 7E7E0B3F
	v_mul_f32_dpp v60, v24, v60 row_newbcast:0 row_mask:0xf bank_mask:0xf// 0000000083D0: 0A7878FA FF015018
	v_mul_f32_dpp v61, v24, v61 row_newbcast:1 row_mask:0xf bank_mask:0xf// 0000000083D8: 0A7A7AFA FF015118
	v_mul_f32_dpp v62, v24, v62 row_newbcast:2 row_mask:0xf bank_mask:0xf// 0000000083E0: 0A7C7CFA FF015218
	v_mul_f32_dpp v63, v24, v63 row_newbcast:3 row_mask:0xf bank_mask:0xf// 0000000083E8: 0A7E7EFA FF015318
	v_cvt_f32_i32_e32 v64, v64                                 // 0000000083F0: 7E800B40
	v_cvt_f32_i32_e32 v65, v65                                 // 0000000083F4: 7E820B41
	v_cvt_f32_i32_e32 v66, v66                                 // 0000000083F8: 7E840B42
	v_cvt_f32_i32_e32 v67, v67                                 // 0000000083FC: 7E860B43
	v_mul_f32_dpp v64, v24, v64 row_newbcast:0 row_mask:0xf bank_mask:0xf// 000000008400: 0A8080FA FF015018
	v_mul_f32_dpp v65, v24, v65 row_newbcast:1 row_mask:0xf bank_mask:0xf// 000000008408: 0A8282FA FF015118
	v_mul_f32_dpp v66, v24, v66 row_newbcast:2 row_mask:0xf bank_mask:0xf// 000000008410: 0A8484FA FF015218
	v_mul_f32_dpp v67, v24, v67 row_newbcast:3 row_mask:0xf bank_mask:0xf// 000000008418: 0A8686FA FF015318
	v_cvt_f32_i32_e32 v68, v68                                 // 000000008420: 7E880B44
	v_cvt_f32_i32_e32 v69, v69                                 // 000000008424: 7E8A0B45
	v_cvt_f32_i32_e32 v70, v70                                 // 000000008428: 7E8C0B46
	v_cvt_f32_i32_e32 v71, v71                                 // 00000000842C: 7E8E0B47
	v_mul_f32_dpp v68, v24, v68 row_newbcast:0 row_mask:0xf bank_mask:0xf// 000000008430: 0A8888FA FF015018
	v_mul_f32_dpp v69, v24, v69 row_newbcast:1 row_mask:0xf bank_mask:0xf// 000000008438: 0A8A8AFA FF015118
	v_mul_f32_dpp v70, v24, v70 row_newbcast:2 row_mask:0xf bank_mask:0xf// 000000008440: 0A8C8CFA FF015218
	v_mul_f32_dpp v71, v24, v71 row_newbcast:3 row_mask:0xf bank_mask:0xf// 000000008448: 0A8E8EFA FF015318
	v_cvt_f32_i32_e32 v72, v72                                 // 000000008450: 7E900B48
	v_cvt_f32_i32_e32 v73, v73                                 // 000000008454: 7E920B49
	v_cvt_f32_i32_e32 v74, v74                                 // 000000008458: 7E940B4A
	v_cvt_f32_i32_e32 v75, v75                                 // 00000000845C: 7E960B4B
	v_mul_f32_dpp v72, v24, v72 row_newbcast:4 row_mask:0xf bank_mask:0xf// 000000008460: 0A9090FA FF015418
	v_mul_f32_dpp v73, v24, v73 row_newbcast:5 row_mask:0xf bank_mask:0xf// 000000008468: 0A9292FA FF015518
	v_mul_f32_dpp v74, v24, v74 row_newbcast:6 row_mask:0xf bank_mask:0xf// 000000008470: 0A9494FA FF015618
	v_mul_f32_dpp v75, v24, v75 row_newbcast:7 row_mask:0xf bank_mask:0xf// 000000008478: 0A9696FA FF015718
	v_cvt_f32_i32_e32 v76, v76                                 // 000000008480: 7E980B4C
	v_cvt_f32_i32_e32 v77, v77                                 // 000000008484: 7E9A0B4D
	v_cvt_f32_i32_e32 v78, v78                                 // 000000008488: 7E9C0B4E
	v_cvt_f32_i32_e32 v79, v79                                 // 00000000848C: 7E9E0B4F
	v_mul_f32_dpp v76, v24, v76 row_newbcast:4 row_mask:0xf bank_mask:0xf// 000000008490: 0A9898FA FF015418
	v_mul_f32_dpp v77, v24, v77 row_newbcast:5 row_mask:0xf bank_mask:0xf// 000000008498: 0A9A9AFA FF015518
	v_mul_f32_dpp v78, v24, v78 row_newbcast:6 row_mask:0xf bank_mask:0xf// 0000000084A0: 0A9C9CFA FF015618
	v_mul_f32_dpp v79, v24, v79 row_newbcast:7 row_mask:0xf bank_mask:0xf// 0000000084A8: 0A9E9EFA FF015718
	v_cvt_f32_i32_e32 v80, v80                                 // 0000000084B0: 7EA00B50
	v_cvt_f32_i32_e32 v81, v81                                 // 0000000084B4: 7EA20B51
	v_cvt_f32_i32_e32 v82, v82                                 // 0000000084B8: 7EA40B52
	v_cvt_f32_i32_e32 v83, v83                                 // 0000000084BC: 7EA60B53
	v_mul_f32_dpp v80, v24, v80 row_newbcast:4 row_mask:0xf bank_mask:0xf// 0000000084C0: 0AA0A0FA FF015418
	v_mul_f32_dpp v81, v24, v81 row_newbcast:5 row_mask:0xf bank_mask:0xf// 0000000084C8: 0AA2A2FA FF015518
	v_mul_f32_dpp v82, v24, v82 row_newbcast:6 row_mask:0xf bank_mask:0xf// 0000000084D0: 0AA4A4FA FF015618
	v_mul_f32_dpp v83, v24, v83 row_newbcast:7 row_mask:0xf bank_mask:0xf// 0000000084D8: 0AA6A6FA FF015718
	v_cvt_f32_i32_e32 v84, v84                                 // 0000000084E0: 7EA80B54
	v_cvt_f32_i32_e32 v85, v85                                 // 0000000084E4: 7EAA0B55
	v_cvt_f32_i32_e32 v86, v86                                 // 0000000084E8: 7EAC0B56
	v_cvt_f32_i32_e32 v87, v87                                 // 0000000084EC: 7EAE0B57
	v_mul_f32_dpp v84, v24, v84 row_newbcast:4 row_mask:0xf bank_mask:0xf// 0000000084F0: 0AA8A8FA FF015418
	v_mul_f32_dpp v85, v24, v85 row_newbcast:5 row_mask:0xf bank_mask:0xf// 0000000084F8: 0AAAAAFA FF015518
	v_mul_f32_dpp v86, v24, v86 row_newbcast:6 row_mask:0xf bank_mask:0xf// 000000008500: 0AACACFA FF015618
	v_mul_f32_dpp v87, v24, v87 row_newbcast:7 row_mask:0xf bank_mask:0xf// 000000008508: 0AAEAEFA FF015718
	v_cvt_f32_i32_e32 v88, v88                                 // 000000008510: 7EB00B58
	v_cvt_f32_i32_e32 v89, v89                                 // 000000008514: 7EB20B59
	v_cvt_f32_i32_e32 v90, v90                                 // 000000008518: 7EB40B5A
	v_cvt_f32_i32_e32 v91, v91                                 // 00000000851C: 7EB60B5B
	v_mul_f32_dpp v88, v27, v88 row_newbcast:0 row_mask:0xf bank_mask:0xf// 000000008520: 0AB0B0FA FF01501B
	v_mul_f32_dpp v89, v27, v89 row_newbcast:1 row_mask:0xf bank_mask:0xf// 000000008528: 0AB2B2FA FF01511B
	v_mul_f32_dpp v90, v27, v90 row_newbcast:2 row_mask:0xf bank_mask:0xf// 000000008530: 0AB4B4FA FF01521B
	v_mul_f32_dpp v91, v27, v91 row_newbcast:3 row_mask:0xf bank_mask:0xf// 000000008538: 0AB6B6FA FF01531B
	v_cvt_f32_i32_e32 v92, v92                                 // 000000008540: 7EB80B5C
	v_cvt_f32_i32_e32 v93, v93                                 // 000000008544: 7EBA0B5D
	v_cvt_f32_i32_e32 v94, v94                                 // 000000008548: 7EBC0B5E
	v_cvt_f32_i32_e32 v95, v95                                 // 00000000854C: 7EBE0B5F
	v_mul_f32_dpp v92, v27, v92 row_newbcast:0 row_mask:0xf bank_mask:0xf// 000000008550: 0AB8B8FA FF01501B
	v_mul_f32_dpp v93, v27, v93 row_newbcast:1 row_mask:0xf bank_mask:0xf// 000000008558: 0ABABAFA FF01511B
	v_mul_f32_dpp v94, v27, v94 row_newbcast:2 row_mask:0xf bank_mask:0xf// 000000008560: 0ABCBCFA FF01521B
	v_mul_f32_dpp v95, v27, v95 row_newbcast:3 row_mask:0xf bank_mask:0xf// 000000008568: 0ABEBEFA FF01531B
	v_cvt_f32_i32_e32 v96, v96                                 // 000000008570: 7EC00B60
	v_cvt_f32_i32_e32 v97, v97                                 // 000000008574: 7EC20B61
	v_cvt_f32_i32_e32 v98, v98                                 // 000000008578: 7EC40B62
	v_cvt_f32_i32_e32 v99, v99                                 // 00000000857C: 7EC60B63
	v_mul_f32_dpp v96, v27, v96 row_newbcast:0 row_mask:0xf bank_mask:0xf// 000000008580: 0AC0C0FA FF01501B
	v_mul_f32_dpp v97, v27, v97 row_newbcast:1 row_mask:0xf bank_mask:0xf// 000000008588: 0AC2C2FA FF01511B
	v_mul_f32_dpp v98, v27, v98 row_newbcast:2 row_mask:0xf bank_mask:0xf// 000000008590: 0AC4C4FA FF01521B
	v_mul_f32_dpp v99, v27, v99 row_newbcast:3 row_mask:0xf bank_mask:0xf// 000000008598: 0AC6C6FA FF01531B
	v_cvt_f32_i32_e32 v100, v100                               // 0000000085A0: 7EC80B64
	v_cvt_f32_i32_e32 v101, v101                               // 0000000085A4: 7ECA0B65
	v_cvt_f32_i32_e32 v102, v102                               // 0000000085A8: 7ECC0B66
	v_cvt_f32_i32_e32 v103, v103                               // 0000000085AC: 7ECE0B67
	v_mul_f32_dpp v100, v27, v100 row_newbcast:0 row_mask:0xf bank_mask:0xf// 0000000085B0: 0AC8C8FA FF01501B
	v_mul_f32_dpp v101, v27, v101 row_newbcast:1 row_mask:0xf bank_mask:0xf// 0000000085B8: 0ACACAFA FF01511B
	v_mul_f32_dpp v102, v27, v102 row_newbcast:2 row_mask:0xf bank_mask:0xf// 0000000085C0: 0ACCCCFA FF01521B
	v_mul_f32_dpp v103, v27, v103 row_newbcast:3 row_mask:0xf bank_mask:0xf// 0000000085C8: 0ACECEFA FF01531B
	v_cvt_f32_i32_e32 v104, v104                               // 0000000085D0: 7ED00B68
	v_cvt_f32_i32_e32 v105, v105                               // 0000000085D4: 7ED20B69
	v_cvt_f32_i32_e32 v106, v106                               // 0000000085D8: 7ED40B6A
	v_cvt_f32_i32_e32 v107, v107                               // 0000000085DC: 7ED60B6B
	v_mul_f32_dpp v104, v27, v104 row_newbcast:4 row_mask:0xf bank_mask:0xf// 0000000085E0: 0AD0D0FA FF01541B
	v_mul_f32_dpp v105, v27, v105 row_newbcast:5 row_mask:0xf bank_mask:0xf// 0000000085E8: 0AD2D2FA FF01551B
	v_mul_f32_dpp v106, v27, v106 row_newbcast:6 row_mask:0xf bank_mask:0xf// 0000000085F0: 0AD4D4FA FF01561B
	v_mul_f32_dpp v107, v27, v107 row_newbcast:7 row_mask:0xf bank_mask:0xf// 0000000085F8: 0AD6D6FA FF01571B
	v_cvt_f32_i32_e32 v108, v108                               // 000000008600: 7ED80B6C
	v_cvt_f32_i32_e32 v109, v109                               // 000000008604: 7EDA0B6D
	v_cvt_f32_i32_e32 v110, v110                               // 000000008608: 7EDC0B6E
	v_cvt_f32_i32_e32 v111, v111                               // 00000000860C: 7EDE0B6F
	v_mul_f32_dpp v108, v27, v108 row_newbcast:4 row_mask:0xf bank_mask:0xf// 000000008610: 0AD8D8FA FF01541B
	v_mul_f32_dpp v109, v27, v109 row_newbcast:5 row_mask:0xf bank_mask:0xf// 000000008618: 0ADADAFA FF01551B
	v_mul_f32_dpp v110, v27, v110 row_newbcast:6 row_mask:0xf bank_mask:0xf// 000000008620: 0ADCDCFA FF01561B
	v_mul_f32_dpp v111, v27, v111 row_newbcast:7 row_mask:0xf bank_mask:0xf// 000000008628: 0ADEDEFA FF01571B
	v_cvt_f32_i32_e32 v112, v112                               // 000000008630: 7EE00B70
	v_cvt_f32_i32_e32 v113, v113                               // 000000008634: 7EE20B71
	v_cvt_f32_i32_e32 v114, v114                               // 000000008638: 7EE40B72
	v_cvt_f32_i32_e32 v115, v115                               // 00000000863C: 7EE60B73
	v_mul_f32_dpp v112, v27, v112 row_newbcast:4 row_mask:0xf bank_mask:0xf// 000000008640: 0AE0E0FA FF01541B
	v_mul_f32_dpp v113, v27, v113 row_newbcast:5 row_mask:0xf bank_mask:0xf// 000000008648: 0AE2E2FA FF01551B
	v_mul_f32_dpp v114, v27, v114 row_newbcast:6 row_mask:0xf bank_mask:0xf// 000000008650: 0AE4E4FA FF01561B
	v_mul_f32_dpp v115, v27, v115 row_newbcast:7 row_mask:0xf bank_mask:0xf// 000000008658: 0AE6E6FA FF01571B
	v_cvt_f32_i32_e32 v116, v116                               // 000000008660: 7EE80B74
	v_cvt_f32_i32_e32 v117, v117                               // 000000008664: 7EEA0B75
	v_cvt_f32_i32_e32 v118, v118                               // 000000008668: 7EEC0B76
	v_cvt_f32_i32_e32 v119, v119                               // 00000000866C: 7EEE0B77
	v_mul_f32_dpp v116, v27, v116 row_newbcast:4 row_mask:0xf bank_mask:0xf// 000000008670: 0AE8E8FA FF01541B
	v_mul_f32_dpp v117, v27, v117 row_newbcast:5 row_mask:0xf bank_mask:0xf// 000000008678: 0AEAEAFA FF01551B
	v_mul_f32_dpp v118, v27, v118 row_newbcast:6 row_mask:0xf bank_mask:0xf// 000000008680: 0AECECFA FF01561B
	v_mul_f32_dpp v119, v27, v119 row_newbcast:7 row_mask:0xf bank_mask:0xf// 000000008688: 0AEEEEFA FF01571B
	v_mov_b32_e32 v4, v34                                      // 000000008690: 7E080322
	v_mov_b32_e32 v5, v4                                       // 000000008694: 7E0A0304
	v_pk_mul_f32 v[56:57], v[4:5], v[56:57]                    // 000000008698: D3B14038 18027104
	v_pk_mul_f32 v[88:89], v[4:5], v[88:89]                    // 0000000086A0: D3B14058 1802B104
	v_pk_mul_f32 v[58:59], v[4:5], v[58:59]                    // 0000000086A8: D3B1403A 18027504
	v_pk_mul_f32 v[90:91], v[4:5], v[90:91]                    // 0000000086B0: D3B1405A 1802B504
	v_pk_mul_f32 v[72:73], v[4:5], v[72:73]                    // 0000000086B8: D3B14048 18029104
	v_pk_mul_f32 v[104:105], v[4:5], v[104:105]                // 0000000086C0: D3B14068 1802D104
	v_pk_mul_f32 v[74:75], v[4:5], v[74:75]                    // 0000000086C8: D3B1404A 18029504
	v_pk_mul_f32 v[106:107], v[4:5], v[106:107]                // 0000000086D0: D3B1406A 1802D504
	v_mov_b32_e32 v4, v35                                      // 0000000086D8: 7E080323
	v_mov_b32_e32 v5, v4                                       // 0000000086DC: 7E0A0304
	v_pk_mul_f32 v[60:61], v[4:5], v[60:61]                    // 0000000086E0: D3B1403C 18027904
	v_pk_mul_f32 v[92:93], v[4:5], v[92:93]                    // 0000000086E8: D3B1405C 1802B904
	v_pk_mul_f32 v[62:63], v[4:5], v[62:63]                    // 0000000086F0: D3B1403E 18027D04
	v_pk_mul_f32 v[94:95], v[4:5], v[94:95]                    // 0000000086F8: D3B1405E 1802BD04
	v_pk_mul_f32 v[76:77], v[4:5], v[76:77]                    // 000000008700: D3B1404C 18029904
	v_pk_mul_f32 v[108:109], v[4:5], v[108:109]                // 000000008708: D3B1406C 1802D904
	v_pk_mul_f32 v[78:79], v[4:5], v[78:79]                    // 000000008710: D3B1404E 18029D04
	v_pk_mul_f32 v[110:111], v[4:5], v[110:111]                // 000000008718: D3B1406E 1802DD04
	v_mov_b32_e32 v4, v36                                      // 000000008720: 7E080324
	v_mov_b32_e32 v5, v4                                       // 000000008724: 7E0A0304
	v_pk_mul_f32 v[64:65], v[4:5], v[64:65]                    // 000000008728: D3B14040 18028104
	v_pk_mul_f32 v[96:97], v[4:5], v[96:97]                    // 000000008730: D3B14060 1802C104
	v_pk_mul_f32 v[66:67], v[4:5], v[66:67]                    // 000000008738: D3B14042 18028504
	v_pk_mul_f32 v[98:99], v[4:5], v[98:99]                    // 000000008740: D3B14062 1802C504
	v_pk_mul_f32 v[80:81], v[4:5], v[80:81]                    // 000000008748: D3B14050 1802A104
	v_pk_mul_f32 v[112:113], v[4:5], v[112:113]                // 000000008750: D3B14070 1802E104
	v_pk_mul_f32 v[82:83], v[4:5], v[82:83]                    // 000000008758: D3B14052 1802A504
	v_pk_mul_f32 v[114:115], v[4:5], v[114:115]                // 000000008760: D3B14072 1802E504
	v_mov_b32_e32 v4, v37                                      // 000000008768: 7E080325
	v_mov_b32_e32 v5, v4                                       // 00000000876C: 7E0A0304
	v_pk_mul_f32 v[68:69], v[4:5], v[68:69]                    // 000000008770: D3B14044 18028904
	v_pk_mul_f32 v[100:101], v[4:5], v[100:101]                // 000000008778: D3B14064 1802C904
	v_pk_mul_f32 v[70:71], v[4:5], v[70:71]                    // 000000008780: D3B14046 18028D04
	v_pk_mul_f32 v[102:103], v[4:5], v[102:103]                // 000000008788: D3B14066 1802CD04
	v_pk_mul_f32 v[84:85], v[4:5], v[84:85]                    // 000000008790: D3B14054 1802A904
	v_pk_mul_f32 v[116:117], v[4:5], v[116:117]                // 000000008798: D3B14074 1802E904
	v_pk_mul_f32 v[86:87], v[4:5], v[86:87]                    // 0000000087A0: D3B14056 1802AD04
	v_pk_mul_f32 v[118:119], v[4:5], v[118:119]                // 0000000087A8: D3B14076 1802ED04
	s_cmp_eq_u32 s88, 0                                        // 0000000087B0: BF068058
	s_cbranch_scc0 label_1C32                                  // 0000000087B4: BF8404C1
	s_cmp_eq_u32 s89, 0                                        // 0000000087B8: BF068059
	s_cbranch_scc1 label_18B8                                  // 0000000087BC: BF850145
	v_mov_b32_e32 v8, v1                                       // 0000000087C0: 7E100301
	v_mov_b32_e32 v9, v1                                       // 0000000087C4: 7E120301
	s_mov_b32 s60, s6                                          // 0000000087C8: BEBC0006
	s_mov_b32 s61, s6                                          // 0000000087CC: BEBD0006
	v_pk_mul_f32 v[4:5], v[56:57], v[56:57]                    // 0000000087D0: D3B14004 18027138
	v_pk_mul_f32 v[6:7], v[58:59], v[58:59]                    // 0000000087D8: D3B14006 1802753A
	v_pk_fma_f32 v[4:5], v[4:5], s[78:79], v[8:9]              // 0000000087E0: D3B04004 1C209D04
	v_pk_fma_f32 v[6:7], v[6:7], s[78:79], v[8:9]              // 0000000087E8: D3B04006 1C209D06
	v_pk_mul_f32 v[4:5], v[4:5], v[56:57]                      // 0000000087F0: D3B14004 18027104
	v_pk_mul_f32 v[6:7], v[6:7], v[58:59]                      // 0000000087F8: D3B14006 18027506
	v_pk_mul_f32 v[4:5], v[4:5], s[60:61]                      // 000000008800: D3B14004 18007904
	v_pk_mul_f32 v[6:7], v[6:7], s[60:61]                      // 000000008808: D3B14006 18007906
	v_exp_f32_e32 v4, v4                                       // 000000008810: 7E084104
	v_exp_f32_e32 v5, v5                                       // 000000008814: 7E0A4105
	v_exp_f32_e32 v6, v6                                       // 000000008818: 7E0C4106
	v_exp_f32_e32 v7, v7                                       // 00000000881C: 7E0E4107
	v_add_f32_e64 v4, v4, 1.0                                  // 000000008820: D1010004 0001E504
	v_add_f32_e64 v5, v5, 1.0                                  // 000000008828: D1010005 0001E505
	v_add_f32_e64 v6, v6, 1.0                                  // 000000008830: D1010006 0001E506
	v_add_f32_e64 v7, v7, 1.0                                  // 000000008838: D1010007 0001E507
	v_rcp_f32_e32 v4, v4                                       // 000000008840: 7E084504
	v_rcp_f32_e32 v5, v5                                       // 000000008844: 7E0A4505
	v_rcp_f32_e32 v6, v6                                       // 000000008848: 7E0C4506
	v_rcp_f32_e32 v7, v7                                       // 00000000884C: 7E0E4507
	v_mul_f32_e32 v56, v56, v4                                 // 000000008850: 0A700938
	v_mul_f32_e32 v57, v57, v5                                 // 000000008854: 0A720B39
	v_mul_f32_e32 v58, v58, v6                                 // 000000008858: 0A740D3A
	v_mul_f32_e32 v59, v59, v7                                 // 00000000885C: 0A760F3B
	v_mul_f32_e32 v56, v56, v88                                // 000000008860: 0A70B138
	v_mul_f32_e32 v57, v57, v89                                // 000000008864: 0A72B339
	v_mul_f32_e32 v58, v58, v90                                // 000000008868: 0A74B53A
	v_mul_f32_e32 v59, v59, v91                                // 00000000886C: 0A76B73B
	v_pk_mul_f32 v[4:5], v[60:61], v[60:61]                    // 000000008870: D3B14004 1802793C
	v_pk_mul_f32 v[6:7], v[62:63], v[62:63]                    // 000000008878: D3B14006 18027D3E
	v_pk_fma_f32 v[4:5], v[4:5], s[78:79], v[8:9]              // 000000008880: D3B04004 1C209D04
	v_pk_fma_f32 v[6:7], v[6:7], s[78:79], v[8:9]              // 000000008888: D3B04006 1C209D06
	v_pk_mul_f32 v[4:5], v[4:5], v[60:61]                      // 000000008890: D3B14004 18027904
	v_pk_mul_f32 v[6:7], v[6:7], v[62:63]                      // 000000008898: D3B14006 18027D06
	v_pk_mul_f32 v[4:5], v[4:5], s[60:61]                      // 0000000088A0: D3B14004 18007904
	v_pk_mul_f32 v[6:7], v[6:7], s[60:61]                      // 0000000088A8: D3B14006 18007906
	v_exp_f32_e32 v4, v4                                       // 0000000088B0: 7E084104
	v_exp_f32_e32 v5, v5                                       // 0000000088B4: 7E0A4105
	v_exp_f32_e32 v6, v6                                       // 0000000088B8: 7E0C4106
	v_exp_f32_e32 v7, v7                                       // 0000000088BC: 7E0E4107
	v_add_f32_e64 v4, v4, 1.0                                  // 0000000088C0: D1010004 0001E504
	v_add_f32_e64 v5, v5, 1.0                                  // 0000000088C8: D1010005 0001E505
	v_add_f32_e64 v6, v6, 1.0                                  // 0000000088D0: D1010006 0001E506
	v_add_f32_e64 v7, v7, 1.0                                  // 0000000088D8: D1010007 0001E507
	v_rcp_f32_e32 v4, v4                                       // 0000000088E0: 7E084504
	v_rcp_f32_e32 v5, v5                                       // 0000000088E4: 7E0A4505
	v_rcp_f32_e32 v6, v6                                       // 0000000088E8: 7E0C4506
	v_rcp_f32_e32 v7, v7                                       // 0000000088EC: 7E0E4507
	v_mul_f32_e32 v60, v60, v4                                 // 0000000088F0: 0A78093C
	v_mul_f32_e32 v61, v61, v5                                 // 0000000088F4: 0A7A0B3D
	v_mul_f32_e32 v62, v62, v6                                 // 0000000088F8: 0A7C0D3E
	v_mul_f32_e32 v63, v63, v7                                 // 0000000088FC: 0A7E0F3F
	v_mul_f32_e32 v60, v60, v92                                // 000000008900: 0A78B93C
	v_mul_f32_e32 v61, v61, v93                                // 000000008904: 0A7ABB3D
	v_mul_f32_e32 v62, v62, v94                                // 000000008908: 0A7CBD3E
	v_mul_f32_e32 v63, v63, v95                                // 00000000890C: 0A7EBF3F
	v_pk_mul_f32 v[4:5], v[64:65], v[64:65]                    // 000000008910: D3B14004 18028140
	v_pk_mul_f32 v[6:7], v[66:67], v[66:67]                    // 000000008918: D3B14006 18028542
	v_pk_fma_f32 v[4:5], v[4:5], s[78:79], v[8:9]              // 000000008920: D3B04004 1C209D04
	v_pk_fma_f32 v[6:7], v[6:7], s[78:79], v[8:9]              // 000000008928: D3B04006 1C209D06
	v_pk_mul_f32 v[4:5], v[4:5], v[64:65]                      // 000000008930: D3B14004 18028104
	v_pk_mul_f32 v[6:7], v[6:7], v[66:67]                      // 000000008938: D3B14006 18028506
	v_pk_mul_f32 v[4:5], v[4:5], s[60:61]                      // 000000008940: D3B14004 18007904
	v_pk_mul_f32 v[6:7], v[6:7], s[60:61]                      // 000000008948: D3B14006 18007906
	v_exp_f32_e32 v4, v4                                       // 000000008950: 7E084104
	v_exp_f32_e32 v5, v5                                       // 000000008954: 7E0A4105
	v_exp_f32_e32 v6, v6                                       // 000000008958: 7E0C4106
	v_exp_f32_e32 v7, v7                                       // 00000000895C: 7E0E4107
	v_add_f32_e64 v4, v4, 1.0                                  // 000000008960: D1010004 0001E504
	v_add_f32_e64 v5, v5, 1.0                                  // 000000008968: D1010005 0001E505
	v_add_f32_e64 v6, v6, 1.0                                  // 000000008970: D1010006 0001E506
	v_add_f32_e64 v7, v7, 1.0                                  // 000000008978: D1010007 0001E507
	v_rcp_f32_e32 v4, v4                                       // 000000008980: 7E084504
	v_rcp_f32_e32 v5, v5                                       // 000000008984: 7E0A4505
	v_rcp_f32_e32 v6, v6                                       // 000000008988: 7E0C4506
	v_rcp_f32_e32 v7, v7                                       // 00000000898C: 7E0E4507
	v_mul_f32_e32 v64, v64, v4                                 // 000000008990: 0A800940
	v_mul_f32_e32 v65, v65, v5                                 // 000000008994: 0A820B41
	v_mul_f32_e32 v66, v66, v6                                 // 000000008998: 0A840D42
	v_mul_f32_e32 v67, v67, v7                                 // 00000000899C: 0A860F43
	v_mul_f32_e32 v64, v64, v96                                // 0000000089A0: 0A80C140
	v_mul_f32_e32 v65, v65, v97                                // 0000000089A4: 0A82C341
	v_mul_f32_e32 v66, v66, v98                                // 0000000089A8: 0A84C542
	v_mul_f32_e32 v67, v67, v99                                // 0000000089AC: 0A86C743
	v_pk_mul_f32 v[4:5], v[68:69], v[68:69]                    // 0000000089B0: D3B14004 18028944
	v_pk_mul_f32 v[6:7], v[70:71], v[70:71]                    // 0000000089B8: D3B14006 18028D46
	v_pk_fma_f32 v[4:5], v[4:5], s[78:79], v[8:9]              // 0000000089C0: D3B04004 1C209D04
	v_pk_fma_f32 v[6:7], v[6:7], s[78:79], v[8:9]              // 0000000089C8: D3B04006 1C209D06
	v_pk_mul_f32 v[4:5], v[4:5], v[68:69]                      // 0000000089D0: D3B14004 18028904
	v_pk_mul_f32 v[6:7], v[6:7], v[70:71]                      // 0000000089D8: D3B14006 18028D06
	v_pk_mul_f32 v[4:5], v[4:5], s[60:61]                      // 0000000089E0: D3B14004 18007904
	v_pk_mul_f32 v[6:7], v[6:7], s[60:61]                      // 0000000089E8: D3B14006 18007906
	v_exp_f32_e32 v4, v4                                       // 0000000089F0: 7E084104
	v_exp_f32_e32 v5, v5                                       // 0000000089F4: 7E0A4105
	v_exp_f32_e32 v6, v6                                       // 0000000089F8: 7E0C4106
	v_exp_f32_e32 v7, v7                                       // 0000000089FC: 7E0E4107
	v_add_f32_e64 v4, v4, 1.0                                  // 000000008A00: D1010004 0001E504
	v_add_f32_e64 v5, v5, 1.0                                  // 000000008A08: D1010005 0001E505
	v_add_f32_e64 v6, v6, 1.0                                  // 000000008A10: D1010006 0001E506
	v_add_f32_e64 v7, v7, 1.0                                  // 000000008A18: D1010007 0001E507
	v_rcp_f32_e32 v4, v4                                       // 000000008A20: 7E084504
	v_rcp_f32_e32 v5, v5                                       // 000000008A24: 7E0A4505
	v_rcp_f32_e32 v6, v6                                       // 000000008A28: 7E0C4506
	v_rcp_f32_e32 v7, v7                                       // 000000008A2C: 7E0E4507
	v_mul_f32_e32 v68, v68, v4                                 // 000000008A30: 0A880944
	v_mul_f32_e32 v69, v69, v5                                 // 000000008A34: 0A8A0B45
	v_mul_f32_e32 v70, v70, v6                                 // 000000008A38: 0A8C0D46
	v_mul_f32_e32 v71, v71, v7                                 // 000000008A3C: 0A8E0F47
	v_mul_f32_e32 v68, v68, v100                               // 000000008A40: 0A88C944
	v_mul_f32_e32 v69, v69, v101                               // 000000008A44: 0A8ACB45
	v_mul_f32_e32 v70, v70, v102                               // 000000008A48: 0A8CCD46
	v_mul_f32_e32 v71, v71, v103                               // 000000008A4C: 0A8ECF47
	v_pk_mul_f32 v[4:5], v[72:73], v[72:73]                    // 000000008A50: D3B14004 18029148
	v_pk_mul_f32 v[6:7], v[74:75], v[74:75]                    // 000000008A58: D3B14006 1802954A
	v_pk_fma_f32 v[4:5], v[4:5], s[78:79], v[8:9]              // 000000008A60: D3B04004 1C209D04
	v_pk_fma_f32 v[6:7], v[6:7], s[78:79], v[8:9]              // 000000008A68: D3B04006 1C209D06
	v_pk_mul_f32 v[4:5], v[4:5], v[72:73]                      // 000000008A70: D3B14004 18029104
	v_pk_mul_f32 v[6:7], v[6:7], v[74:75]                      // 000000008A78: D3B14006 18029506
	v_pk_mul_f32 v[4:5], v[4:5], s[60:61]                      // 000000008A80: D3B14004 18007904
	v_pk_mul_f32 v[6:7], v[6:7], s[60:61]                      // 000000008A88: D3B14006 18007906
	v_exp_f32_e32 v4, v4                                       // 000000008A90: 7E084104
	v_exp_f32_e32 v5, v5                                       // 000000008A94: 7E0A4105
	v_exp_f32_e32 v6, v6                                       // 000000008A98: 7E0C4106
	v_exp_f32_e32 v7, v7                                       // 000000008A9C: 7E0E4107
	v_add_f32_e64 v4, v4, 1.0                                  // 000000008AA0: D1010004 0001E504
	v_add_f32_e64 v5, v5, 1.0                                  // 000000008AA8: D1010005 0001E505
	v_add_f32_e64 v6, v6, 1.0                                  // 000000008AB0: D1010006 0001E506
	v_add_f32_e64 v7, v7, 1.0                                  // 000000008AB8: D1010007 0001E507
	v_rcp_f32_e32 v4, v4                                       // 000000008AC0: 7E084504
	v_rcp_f32_e32 v5, v5                                       // 000000008AC4: 7E0A4505
	v_rcp_f32_e32 v6, v6                                       // 000000008AC8: 7E0C4506
	v_rcp_f32_e32 v7, v7                                       // 000000008ACC: 7E0E4507
	v_mul_f32_e32 v72, v72, v4                                 // 000000008AD0: 0A900948
	v_mul_f32_e32 v73, v73, v5                                 // 000000008AD4: 0A920B49
	v_mul_f32_e32 v74, v74, v6                                 // 000000008AD8: 0A940D4A
	v_mul_f32_e32 v75, v75, v7                                 // 000000008ADC: 0A960F4B
	v_mul_f32_e32 v72, v72, v104                               // 000000008AE0: 0A90D148
	v_mul_f32_e32 v73, v73, v105                               // 000000008AE4: 0A92D349
	v_mul_f32_e32 v74, v74, v106                               // 000000008AE8: 0A94D54A
	v_mul_f32_e32 v75, v75, v107                               // 000000008AEC: 0A96D74B
	v_pk_mul_f32 v[4:5], v[76:77], v[76:77]                    // 000000008AF0: D3B14004 1802994C
	v_pk_mul_f32 v[6:7], v[78:79], v[78:79]                    // 000000008AF8: D3B14006 18029D4E
	v_pk_fma_f32 v[4:5], v[4:5], s[78:79], v[8:9]              // 000000008B00: D3B04004 1C209D04
	v_pk_fma_f32 v[6:7], v[6:7], s[78:79], v[8:9]              // 000000008B08: D3B04006 1C209D06
	v_pk_mul_f32 v[4:5], v[4:5], v[76:77]                      // 000000008B10: D3B14004 18029904
	v_pk_mul_f32 v[6:7], v[6:7], v[78:79]                      // 000000008B18: D3B14006 18029D06
	v_pk_mul_f32 v[4:5], v[4:5], s[60:61]                      // 000000008B20: D3B14004 18007904
	v_pk_mul_f32 v[6:7], v[6:7], s[60:61]                      // 000000008B28: D3B14006 18007906
	v_exp_f32_e32 v4, v4                                       // 000000008B30: 7E084104
	v_exp_f32_e32 v5, v5                                       // 000000008B34: 7E0A4105
	v_exp_f32_e32 v6, v6                                       // 000000008B38: 7E0C4106
	v_exp_f32_e32 v7, v7                                       // 000000008B3C: 7E0E4107
	v_add_f32_e64 v4, v4, 1.0                                  // 000000008B40: D1010004 0001E504
	v_add_f32_e64 v5, v5, 1.0                                  // 000000008B48: D1010005 0001E505
	v_add_f32_e64 v6, v6, 1.0                                  // 000000008B50: D1010006 0001E506
	v_add_f32_e64 v7, v7, 1.0                                  // 000000008B58: D1010007 0001E507
	v_rcp_f32_e32 v4, v4                                       // 000000008B60: 7E084504
	v_rcp_f32_e32 v5, v5                                       // 000000008B64: 7E0A4505
	v_rcp_f32_e32 v6, v6                                       // 000000008B68: 7E0C4506
	v_rcp_f32_e32 v7, v7                                       // 000000008B6C: 7E0E4507
	v_mul_f32_e32 v76, v76, v4                                 // 000000008B70: 0A98094C
	v_mul_f32_e32 v77, v77, v5                                 // 000000008B74: 0A9A0B4D
	v_mul_f32_e32 v78, v78, v6                                 // 000000008B78: 0A9C0D4E
	v_mul_f32_e32 v79, v79, v7                                 // 000000008B7C: 0A9E0F4F
	v_mul_f32_e32 v76, v76, v108                               // 000000008B80: 0A98D94C
	v_mul_f32_e32 v77, v77, v109                               // 000000008B84: 0A9ADB4D
	v_mul_f32_e32 v78, v78, v110                               // 000000008B88: 0A9CDD4E
	v_mul_f32_e32 v79, v79, v111                               // 000000008B8C: 0A9EDF4F
	v_pk_mul_f32 v[4:5], v[80:81], v[80:81]                    // 000000008B90: D3B14004 1802A150
	v_pk_mul_f32 v[6:7], v[82:83], v[82:83]                    // 000000008B98: D3B14006 1802A552
	v_pk_fma_f32 v[4:5], v[4:5], s[78:79], v[8:9]              // 000000008BA0: D3B04004 1C209D04
	v_pk_fma_f32 v[6:7], v[6:7], s[78:79], v[8:9]              // 000000008BA8: D3B04006 1C209D06
	v_pk_mul_f32 v[4:5], v[4:5], v[80:81]                      // 000000008BB0: D3B14004 1802A104
	v_pk_mul_f32 v[6:7], v[6:7], v[82:83]                      // 000000008BB8: D3B14006 1802A506
	v_pk_mul_f32 v[4:5], v[4:5], s[60:61]                      // 000000008BC0: D3B14004 18007904
	v_pk_mul_f32 v[6:7], v[6:7], s[60:61]                      // 000000008BC8: D3B14006 18007906
	v_exp_f32_e32 v4, v4                                       // 000000008BD0: 7E084104
	v_exp_f32_e32 v5, v5                                       // 000000008BD4: 7E0A4105
	v_exp_f32_e32 v6, v6                                       // 000000008BD8: 7E0C4106
	v_exp_f32_e32 v7, v7                                       // 000000008BDC: 7E0E4107
	v_add_f32_e64 v4, v4, 1.0                                  // 000000008BE0: D1010004 0001E504
	v_add_f32_e64 v5, v5, 1.0                                  // 000000008BE8: D1010005 0001E505
	v_add_f32_e64 v6, v6, 1.0                                  // 000000008BF0: D1010006 0001E506
	v_add_f32_e64 v7, v7, 1.0                                  // 000000008BF8: D1010007 0001E507
	v_rcp_f32_e32 v4, v4                                       // 000000008C00: 7E084504
	v_rcp_f32_e32 v5, v5                                       // 000000008C04: 7E0A4505
	v_rcp_f32_e32 v6, v6                                       // 000000008C08: 7E0C4506
	v_rcp_f32_e32 v7, v7                                       // 000000008C0C: 7E0E4507
	v_mul_f32_e32 v80, v80, v4                                 // 000000008C10: 0AA00950
	v_mul_f32_e32 v81, v81, v5                                 // 000000008C14: 0AA20B51
	v_mul_f32_e32 v82, v82, v6                                 // 000000008C18: 0AA40D52
	v_mul_f32_e32 v83, v83, v7                                 // 000000008C1C: 0AA60F53
	v_mul_f32_e32 v80, v80, v112                               // 000000008C20: 0AA0E150
	v_mul_f32_e32 v81, v81, v113                               // 000000008C24: 0AA2E351
	v_mul_f32_e32 v82, v82, v114                               // 000000008C28: 0AA4E552
	v_mul_f32_e32 v83, v83, v115                               // 000000008C2C: 0AA6E753
	v_pk_mul_f32 v[4:5], v[84:85], v[84:85]                    // 000000008C30: D3B14004 1802A954
	v_pk_mul_f32 v[6:7], v[86:87], v[86:87]                    // 000000008C38: D3B14006 1802AD56
	v_pk_fma_f32 v[4:5], v[4:5], s[78:79], v[8:9]              // 000000008C40: D3B04004 1C209D04
	v_pk_fma_f32 v[6:7], v[6:7], s[78:79], v[8:9]              // 000000008C48: D3B04006 1C209D06
	v_pk_mul_f32 v[4:5], v[4:5], v[84:85]                      // 000000008C50: D3B14004 1802A904
	v_pk_mul_f32 v[6:7], v[6:7], v[86:87]                      // 000000008C58: D3B14006 1802AD06
	v_pk_mul_f32 v[4:5], v[4:5], s[60:61]                      // 000000008C60: D3B14004 18007904
	v_pk_mul_f32 v[6:7], v[6:7], s[60:61]                      // 000000008C68: D3B14006 18007906
	v_exp_f32_e32 v4, v4                                       // 000000008C70: 7E084104
	v_exp_f32_e32 v5, v5                                       // 000000008C74: 7E0A4105
	v_exp_f32_e32 v6, v6                                       // 000000008C78: 7E0C4106
	v_exp_f32_e32 v7, v7                                       // 000000008C7C: 7E0E4107
	v_add_f32_e64 v4, v4, 1.0                                  // 000000008C80: D1010004 0001E504
	v_add_f32_e64 v5, v5, 1.0                                  // 000000008C88: D1010005 0001E505
	v_add_f32_e64 v6, v6, 1.0                                  // 000000008C90: D1010006 0001E506
	v_add_f32_e64 v7, v7, 1.0                                  // 000000008C98: D1010007 0001E507
	v_rcp_f32_e32 v4, v4                                       // 000000008CA0: 7E084504
	v_rcp_f32_e32 v5, v5                                       // 000000008CA4: 7E0A4505
	v_rcp_f32_e32 v6, v6                                       // 000000008CA8: 7E0C4506
	v_rcp_f32_e32 v7, v7                                       // 000000008CAC: 7E0E4507
	v_mul_f32_e32 v84, v84, v4                                 // 000000008CB0: 0AA80954
	v_mul_f32_e32 v85, v85, v5                                 // 000000008CB4: 0AAA0B55
	v_mul_f32_e32 v86, v86, v6                                 // 000000008CB8: 0AAC0D56
	v_mul_f32_e32 v87, v87, v7                                 // 000000008CBC: 0AAE0F57
	v_mul_f32_e32 v84, v84, v116                               // 000000008CC0: 0AA8E954
	v_mul_f32_e32 v85, v85, v117                               // 000000008CC4: 0AAAEB55
	v_mul_f32_e32 v86, v86, v118                               // 000000008CC8: 0AACED56
	v_mul_f32_e32 v87, v87, v119                               // 000000008CCC: 0AAEEF57
	s_branch label_19B8                                        // 000000008CD0: BF820100

0000000000008cd4 <label_18B8>:
	v_mul_f32_e64 v4, -v56, s6                                 // 000000008CD4: D1050004 20000D38
	v_mul_f32_e64 v5, -v57, s6                                 // 000000008CDC: D1050005 20000D39
	v_mul_f32_e64 v6, -v58, s6                                 // 000000008CE4: D1050006 20000D3A
	v_mul_f32_e64 v7, -v59, s6                                 // 000000008CEC: D1050007 20000D3B
	v_exp_f32_e32 v4, v4                                       // 000000008CF4: 7E084104
	v_exp_f32_e32 v5, v5                                       // 000000008CF8: 7E0A4105
	v_exp_f32_e32 v6, v6                                       // 000000008CFC: 7E0C4106
	v_exp_f32_e32 v7, v7                                       // 000000008D00: 7E0E4107
	v_add_f32_e64 v4, v4, 1.0                                  // 000000008D04: D1010004 0001E504
	v_add_f32_e64 v5, v5, 1.0                                  // 000000008D0C: D1010005 0001E505
	v_add_f32_e64 v6, v6, 1.0                                  // 000000008D14: D1010006 0001E506
	v_add_f32_e64 v7, v7, 1.0                                  // 000000008D1C: D1010007 0001E507
	v_rcp_f32_e32 v4, v4                                       // 000000008D24: 7E084504
	v_rcp_f32_e32 v5, v5                                       // 000000008D28: 7E0A4505
	v_rcp_f32_e32 v6, v6                                       // 000000008D2C: 7E0C4506
	v_rcp_f32_e32 v7, v7                                       // 000000008D30: 7E0E4507
	v_mul_f32_e32 v56, v56, v4                                 // 000000008D34: 0A700938
	v_mul_f32_e32 v57, v57, v5                                 // 000000008D38: 0A720B39
	v_mul_f32_e32 v58, v58, v6                                 // 000000008D3C: 0A740D3A
	v_mul_f32_e32 v59, v59, v7                                 // 000000008D40: 0A760F3B
	v_mul_f32_e32 v56, v56, v88                                // 000000008D44: 0A70B138
	v_mul_f32_e32 v57, v57, v89                                // 000000008D48: 0A72B339
	v_mul_f32_e32 v58, v58, v90                                // 000000008D4C: 0A74B53A
	v_mul_f32_e32 v59, v59, v91                                // 000000008D50: 0A76B73B
	v_mul_f32_e64 v4, -v60, s6                                 // 000000008D54: D1050004 20000D3C
	v_mul_f32_e64 v5, -v61, s6                                 // 000000008D5C: D1050005 20000D3D
	v_mul_f32_e64 v6, -v62, s6                                 // 000000008D64: D1050006 20000D3E
	v_mul_f32_e64 v7, -v63, s6                                 // 000000008D6C: D1050007 20000D3F
	v_exp_f32_e32 v4, v4                                       // 000000008D74: 7E084104
	v_exp_f32_e32 v5, v5                                       // 000000008D78: 7E0A4105
	v_exp_f32_e32 v6, v6                                       // 000000008D7C: 7E0C4106
	v_exp_f32_e32 v7, v7                                       // 000000008D80: 7E0E4107
	v_add_f32_e64 v4, v4, 1.0                                  // 000000008D84: D1010004 0001E504
	v_add_f32_e64 v5, v5, 1.0                                  // 000000008D8C: D1010005 0001E505
	v_add_f32_e64 v6, v6, 1.0                                  // 000000008D94: D1010006 0001E506
	v_add_f32_e64 v7, v7, 1.0                                  // 000000008D9C: D1010007 0001E507
	v_rcp_f32_e32 v4, v4                                       // 000000008DA4: 7E084504
	v_rcp_f32_e32 v5, v5                                       // 000000008DA8: 7E0A4505
	v_rcp_f32_e32 v6, v6                                       // 000000008DAC: 7E0C4506
	v_rcp_f32_e32 v7, v7                                       // 000000008DB0: 7E0E4507
	v_mul_f32_e32 v60, v60, v4                                 // 000000008DB4: 0A78093C
	v_mul_f32_e32 v61, v61, v5                                 // 000000008DB8: 0A7A0B3D
	v_mul_f32_e32 v62, v62, v6                                 // 000000008DBC: 0A7C0D3E
	v_mul_f32_e32 v63, v63, v7                                 // 000000008DC0: 0A7E0F3F
	v_mul_f32_e32 v60, v60, v92                                // 000000008DC4: 0A78B93C
	v_mul_f32_e32 v61, v61, v93                                // 000000008DC8: 0A7ABB3D
	v_mul_f32_e32 v62, v62, v94                                // 000000008DCC: 0A7CBD3E
	v_mul_f32_e32 v63, v63, v95                                // 000000008DD0: 0A7EBF3F
	v_mul_f32_e64 v4, -v64, s6                                 // 000000008DD4: D1050004 20000D40
	v_mul_f32_e64 v5, -v65, s6                                 // 000000008DDC: D1050005 20000D41
	v_mul_f32_e64 v6, -v66, s6                                 // 000000008DE4: D1050006 20000D42
	v_mul_f32_e64 v7, -v67, s6                                 // 000000008DEC: D1050007 20000D43
	v_exp_f32_e32 v4, v4                                       // 000000008DF4: 7E084104
	v_exp_f32_e32 v5, v5                                       // 000000008DF8: 7E0A4105
	v_exp_f32_e32 v6, v6                                       // 000000008DFC: 7E0C4106
	v_exp_f32_e32 v7, v7                                       // 000000008E00: 7E0E4107
	v_add_f32_e64 v4, v4, 1.0                                  // 000000008E04: D1010004 0001E504
	v_add_f32_e64 v5, v5, 1.0                                  // 000000008E0C: D1010005 0001E505
	v_add_f32_e64 v6, v6, 1.0                                  // 000000008E14: D1010006 0001E506
	v_add_f32_e64 v7, v7, 1.0                                  // 000000008E1C: D1010007 0001E507
	v_rcp_f32_e32 v4, v4                                       // 000000008E24: 7E084504
	v_rcp_f32_e32 v5, v5                                       // 000000008E28: 7E0A4505
	v_rcp_f32_e32 v6, v6                                       // 000000008E2C: 7E0C4506
	v_rcp_f32_e32 v7, v7                                       // 000000008E30: 7E0E4507
	v_mul_f32_e32 v64, v64, v4                                 // 000000008E34: 0A800940
	v_mul_f32_e32 v65, v65, v5                                 // 000000008E38: 0A820B41
	v_mul_f32_e32 v66, v66, v6                                 // 000000008E3C: 0A840D42
	v_mul_f32_e32 v67, v67, v7                                 // 000000008E40: 0A860F43
	v_mul_f32_e32 v64, v64, v96                                // 000000008E44: 0A80C140
	v_mul_f32_e32 v65, v65, v97                                // 000000008E48: 0A82C341
	v_mul_f32_e32 v66, v66, v98                                // 000000008E4C: 0A84C542
	v_mul_f32_e32 v67, v67, v99                                // 000000008E50: 0A86C743
	v_mul_f32_e64 v4, -v68, s6                                 // 000000008E54: D1050004 20000D44
	v_mul_f32_e64 v5, -v69, s6                                 // 000000008E5C: D1050005 20000D45
	v_mul_f32_e64 v6, -v70, s6                                 // 000000008E64: D1050006 20000D46
	v_mul_f32_e64 v7, -v71, s6                                 // 000000008E6C: D1050007 20000D47
	v_exp_f32_e32 v4, v4                                       // 000000008E74: 7E084104
	v_exp_f32_e32 v5, v5                                       // 000000008E78: 7E0A4105
	v_exp_f32_e32 v6, v6                                       // 000000008E7C: 7E0C4106
	v_exp_f32_e32 v7, v7                                       // 000000008E80: 7E0E4107
	v_add_f32_e64 v4, v4, 1.0                                  // 000000008E84: D1010004 0001E504
	v_add_f32_e64 v5, v5, 1.0                                  // 000000008E8C: D1010005 0001E505
	v_add_f32_e64 v6, v6, 1.0                                  // 000000008E94: D1010006 0001E506
	v_add_f32_e64 v7, v7, 1.0                                  // 000000008E9C: D1010007 0001E507
	v_rcp_f32_e32 v4, v4                                       // 000000008EA4: 7E084504
	v_rcp_f32_e32 v5, v5                                       // 000000008EA8: 7E0A4505
	v_rcp_f32_e32 v6, v6                                       // 000000008EAC: 7E0C4506
	v_rcp_f32_e32 v7, v7                                       // 000000008EB0: 7E0E4507
	v_mul_f32_e32 v68, v68, v4                                 // 000000008EB4: 0A880944
	v_mul_f32_e32 v69, v69, v5                                 // 000000008EB8: 0A8A0B45
	v_mul_f32_e32 v70, v70, v6                                 // 000000008EBC: 0A8C0D46
	v_mul_f32_e32 v71, v71, v7                                 // 000000008EC0: 0A8E0F47
	v_mul_f32_e32 v68, v68, v100                               // 000000008EC4: 0A88C944
	v_mul_f32_e32 v69, v69, v101                               // 000000008EC8: 0A8ACB45
	v_mul_f32_e32 v70, v70, v102                               // 000000008ECC: 0A8CCD46
	v_mul_f32_e32 v71, v71, v103                               // 000000008ED0: 0A8ECF47
	v_mul_f32_e64 v4, -v72, s6                                 // 000000008ED4: D1050004 20000D48
	v_mul_f32_e64 v5, -v73, s6                                 // 000000008EDC: D1050005 20000D49
	v_mul_f32_e64 v6, -v74, s6                                 // 000000008EE4: D1050006 20000D4A
	v_mul_f32_e64 v7, -v75, s6                                 // 000000008EEC: D1050007 20000D4B
	v_exp_f32_e32 v4, v4                                       // 000000008EF4: 7E084104
	v_exp_f32_e32 v5, v5                                       // 000000008EF8: 7E0A4105
	v_exp_f32_e32 v6, v6                                       // 000000008EFC: 7E0C4106
	v_exp_f32_e32 v7, v7                                       // 000000008F00: 7E0E4107
	v_add_f32_e64 v4, v4, 1.0                                  // 000000008F04: D1010004 0001E504
	v_add_f32_e64 v5, v5, 1.0                                  // 000000008F0C: D1010005 0001E505
	v_add_f32_e64 v6, v6, 1.0                                  // 000000008F14: D1010006 0001E506
	v_add_f32_e64 v7, v7, 1.0                                  // 000000008F1C: D1010007 0001E507
	v_rcp_f32_e32 v4, v4                                       // 000000008F24: 7E084504
	v_rcp_f32_e32 v5, v5                                       // 000000008F28: 7E0A4505
	v_rcp_f32_e32 v6, v6                                       // 000000008F2C: 7E0C4506
	v_rcp_f32_e32 v7, v7                                       // 000000008F30: 7E0E4507
	v_mul_f32_e32 v72, v72, v4                                 // 000000008F34: 0A900948
	v_mul_f32_e32 v73, v73, v5                                 // 000000008F38: 0A920B49
	v_mul_f32_e32 v74, v74, v6                                 // 000000008F3C: 0A940D4A
	v_mul_f32_e32 v75, v75, v7                                 // 000000008F40: 0A960F4B
	v_mul_f32_e32 v72, v72, v104                               // 000000008F44: 0A90D148
	v_mul_f32_e32 v73, v73, v105                               // 000000008F48: 0A92D349
	v_mul_f32_e32 v74, v74, v106                               // 000000008F4C: 0A94D54A
	v_mul_f32_e32 v75, v75, v107                               // 000000008F50: 0A96D74B
	v_mul_f32_e64 v4, -v76, s6                                 // 000000008F54: D1050004 20000D4C
	v_mul_f32_e64 v5, -v77, s6                                 // 000000008F5C: D1050005 20000D4D
	v_mul_f32_e64 v6, -v78, s6                                 // 000000008F64: D1050006 20000D4E
	v_mul_f32_e64 v7, -v79, s6                                 // 000000008F6C: D1050007 20000D4F
	v_exp_f32_e32 v4, v4                                       // 000000008F74: 7E084104
	v_exp_f32_e32 v5, v5                                       // 000000008F78: 7E0A4105
	v_exp_f32_e32 v6, v6                                       // 000000008F7C: 7E0C4106
	v_exp_f32_e32 v7, v7                                       // 000000008F80: 7E0E4107
	v_add_f32_e64 v4, v4, 1.0                                  // 000000008F84: D1010004 0001E504
	v_add_f32_e64 v5, v5, 1.0                                  // 000000008F8C: D1010005 0001E505
	v_add_f32_e64 v6, v6, 1.0                                  // 000000008F94: D1010006 0001E506
	v_add_f32_e64 v7, v7, 1.0                                  // 000000008F9C: D1010007 0001E507
	v_rcp_f32_e32 v4, v4                                       // 000000008FA4: 7E084504
	v_rcp_f32_e32 v5, v5                                       // 000000008FA8: 7E0A4505
	v_rcp_f32_e32 v6, v6                                       // 000000008FAC: 7E0C4506
	v_rcp_f32_e32 v7, v7                                       // 000000008FB0: 7E0E4507
	v_mul_f32_e32 v76, v76, v4                                 // 000000008FB4: 0A98094C
	v_mul_f32_e32 v77, v77, v5                                 // 000000008FB8: 0A9A0B4D
	v_mul_f32_e32 v78, v78, v6                                 // 000000008FBC: 0A9C0D4E
	v_mul_f32_e32 v79, v79, v7                                 // 000000008FC0: 0A9E0F4F
	v_mul_f32_e32 v76, v76, v108                               // 000000008FC4: 0A98D94C
	v_mul_f32_e32 v77, v77, v109                               // 000000008FC8: 0A9ADB4D
	v_mul_f32_e32 v78, v78, v110                               // 000000008FCC: 0A9CDD4E
	v_mul_f32_e32 v79, v79, v111                               // 000000008FD0: 0A9EDF4F
	v_mul_f32_e64 v4, -v80, s6                                 // 000000008FD4: D1050004 20000D50
	v_mul_f32_e64 v5, -v81, s6                                 // 000000008FDC: D1050005 20000D51
	v_mul_f32_e64 v6, -v82, s6                                 // 000000008FE4: D1050006 20000D52
	v_mul_f32_e64 v7, -v83, s6                                 // 000000008FEC: D1050007 20000D53
	v_exp_f32_e32 v4, v4                                       // 000000008FF4: 7E084104
	v_exp_f32_e32 v5, v5                                       // 000000008FF8: 7E0A4105
	v_exp_f32_e32 v6, v6                                       // 000000008FFC: 7E0C4106
	v_exp_f32_e32 v7, v7                                       // 000000009000: 7E0E4107
	v_add_f32_e64 v4, v4, 1.0                                  // 000000009004: D1010004 0001E504
	v_add_f32_e64 v5, v5, 1.0                                  // 00000000900C: D1010005 0001E505
	v_add_f32_e64 v6, v6, 1.0                                  // 000000009014: D1010006 0001E506
	v_add_f32_e64 v7, v7, 1.0                                  // 00000000901C: D1010007 0001E507
	v_rcp_f32_e32 v4, v4                                       // 000000009024: 7E084504
	v_rcp_f32_e32 v5, v5                                       // 000000009028: 7E0A4505
	v_rcp_f32_e32 v6, v6                                       // 00000000902C: 7E0C4506
	v_rcp_f32_e32 v7, v7                                       // 000000009030: 7E0E4507
	v_mul_f32_e32 v80, v80, v4                                 // 000000009034: 0AA00950
	v_mul_f32_e32 v81, v81, v5                                 // 000000009038: 0AA20B51
	v_mul_f32_e32 v82, v82, v6                                 // 00000000903C: 0AA40D52
	v_mul_f32_e32 v83, v83, v7                                 // 000000009040: 0AA60F53
	v_mul_f32_e32 v80, v80, v112                               // 000000009044: 0AA0E150
	v_mul_f32_e32 v81, v81, v113                               // 000000009048: 0AA2E351
	v_mul_f32_e32 v82, v82, v114                               // 00000000904C: 0AA4E552
	v_mul_f32_e32 v83, v83, v115                               // 000000009050: 0AA6E753
	v_mul_f32_e64 v4, -v84, s6                                 // 000000009054: D1050004 20000D54
	v_mul_f32_e64 v5, -v85, s6                                 // 00000000905C: D1050005 20000D55
	v_mul_f32_e64 v6, -v86, s6                                 // 000000009064: D1050006 20000D56
	v_mul_f32_e64 v7, -v87, s6                                 // 00000000906C: D1050007 20000D57
	v_exp_f32_e32 v4, v4                                       // 000000009074: 7E084104
	v_exp_f32_e32 v5, v5                                       // 000000009078: 7E0A4105
	v_exp_f32_e32 v6, v6                                       // 00000000907C: 7E0C4106
	v_exp_f32_e32 v7, v7                                       // 000000009080: 7E0E4107
	v_add_f32_e64 v4, v4, 1.0                                  // 000000009084: D1010004 0001E504
	v_add_f32_e64 v5, v5, 1.0                                  // 00000000908C: D1010005 0001E505
	v_add_f32_e64 v6, v6, 1.0                                  // 000000009094: D1010006 0001E506
	v_add_f32_e64 v7, v7, 1.0                                  // 00000000909C: D1010007 0001E507
	v_rcp_f32_e32 v4, v4                                       // 0000000090A4: 7E084504
	v_rcp_f32_e32 v5, v5                                       // 0000000090A8: 7E0A4505
	v_rcp_f32_e32 v6, v6                                       // 0000000090AC: 7E0C4506
	v_rcp_f32_e32 v7, v7                                       // 0000000090B0: 7E0E4507
	v_mul_f32_e32 v84, v84, v4                                 // 0000000090B4: 0AA80954
	v_mul_f32_e32 v85, v85, v5                                 // 0000000090B8: 0AAA0B55
	v_mul_f32_e32 v86, v86, v6                                 // 0000000090BC: 0AAC0D56
	v_mul_f32_e32 v87, v87, v7                                 // 0000000090C0: 0AAE0F57
	v_mul_f32_e32 v84, v84, v116                               // 0000000090C4: 0AA8E954
	v_mul_f32_e32 v85, v85, v117                               // 0000000090C8: 0AAAEB55
	v_mul_f32_e32 v86, v86, v118                               // 0000000090CC: 0AACED56
	v_mul_f32_e32 v87, v87, v119                               // 0000000090D0: 0AAEEF57

00000000000090d4 <label_19B8>:
	v_cmp_u_f32_e64 s[46:47], v56, v56                         // 0000000090D4: D048002E 00027138
	v_add3_u32 v16, v56, v19, 1                                // 0000000090DC: D1FF0010 02062738
	v_cndmask_b32_e64 v4, v16, v18, s[46:47]                   // 0000000090E4: D1000004 00BA2510
	v_cmp_u_f32_e64 s[46:47], v57, v57                         // 0000000090EC: D048002E 00027339
	v_add3_u32 v16, v57, v19, 1                                // 0000000090F4: D1FF0010 02062739
	v_cndmask_b32_e64 v5, v16, v18, s[46:47]                   // 0000000090FC: D1000005 00BA2510
	v_perm_b32 v56, v5, v4, s52                                // 000000009104: D1ED0038 00D20905
	v_cmp_u_f32_e64 s[46:47], v58, v58                         // 00000000910C: D048002E 0002753A
	v_add3_u32 v16, v58, v19, 1                                // 000000009114: D1FF0010 0206273A
	v_cndmask_b32_e64 v4, v16, v18, s[46:47]                   // 00000000911C: D1000004 00BA2510
	v_cmp_u_f32_e64 s[46:47], v59, v59                         // 000000009124: D048002E 0002773B
	v_add3_u32 v16, v59, v19, 1                                // 00000000912C: D1FF0010 0206273B
	v_cndmask_b32_e64 v5, v16, v18, s[46:47]                   // 000000009134: D1000005 00BA2510
	v_perm_b32 v57, v5, v4, s52                                // 00000000913C: D1ED0039 00D20905
	v_cmp_u_f32_e64 s[46:47], v60, v60                         // 000000009144: D048002E 0002793C
	v_add3_u32 v16, v60, v19, 1                                // 00000000914C: D1FF0010 0206273C
	v_cndmask_b32_e64 v4, v16, v18, s[46:47]                   // 000000009154: D1000004 00BA2510
	v_cmp_u_f32_e64 s[46:47], v61, v61                         // 00000000915C: D048002E 00027B3D
	v_add3_u32 v16, v61, v19, 1                                // 000000009164: D1FF0010 0206273D
	v_cndmask_b32_e64 v5, v16, v18, s[46:47]                   // 00000000916C: D1000005 00BA2510
	v_perm_b32 v58, v5, v4, s52                                // 000000009174: D1ED003A 00D20905
	v_cmp_u_f32_e64 s[46:47], v62, v62                         // 00000000917C: D048002E 00027D3E
	v_add3_u32 v16, v62, v19, 1                                // 000000009184: D1FF0010 0206273E
	v_cndmask_b32_e64 v4, v16, v18, s[46:47]                   // 00000000918C: D1000004 00BA2510
	v_cmp_u_f32_e64 s[46:47], v63, v63                         // 000000009194: D048002E 00027F3F
	v_add3_u32 v16, v63, v19, 1                                // 00000000919C: D1FF0010 0206273F
	v_cndmask_b32_e64 v5, v16, v18, s[46:47]                   // 0000000091A4: D1000005 00BA2510
	v_perm_b32 v59, v5, v4, s52                                // 0000000091AC: D1ED003B 00D20905
	v_cmp_u_f32_e64 s[46:47], v64, v64                         // 0000000091B4: D048002E 00028140
	v_add3_u32 v16, v64, v19, 1                                // 0000000091BC: D1FF0010 02062740
	v_cndmask_b32_e64 v4, v16, v18, s[46:47]                   // 0000000091C4: D1000004 00BA2510
	v_cmp_u_f32_e64 s[46:47], v65, v65                         // 0000000091CC: D048002E 00028341
	v_add3_u32 v16, v65, v19, 1                                // 0000000091D4: D1FF0010 02062741
	v_cndmask_b32_e64 v5, v16, v18, s[46:47]                   // 0000000091DC: D1000005 00BA2510
	v_perm_b32 v60, v5, v4, s52                                // 0000000091E4: D1ED003C 00D20905
	v_cmp_u_f32_e64 s[46:47], v66, v66                         // 0000000091EC: D048002E 00028542
	v_add3_u32 v16, v66, v19, 1                                // 0000000091F4: D1FF0010 02062742
	v_cndmask_b32_e64 v4, v16, v18, s[46:47]                   // 0000000091FC: D1000004 00BA2510
	v_cmp_u_f32_e64 s[46:47], v67, v67                         // 000000009204: D048002E 00028743
	v_add3_u32 v16, v67, v19, 1                                // 00000000920C: D1FF0010 02062743
	v_cndmask_b32_e64 v5, v16, v18, s[46:47]                   // 000000009214: D1000005 00BA2510
	v_perm_b32 v61, v5, v4, s52                                // 00000000921C: D1ED003D 00D20905
	v_cmp_u_f32_e64 s[46:47], v68, v68                         // 000000009224: D048002E 00028944
	v_add3_u32 v16, v68, v19, 1                                // 00000000922C: D1FF0010 02062744
	v_cndmask_b32_e64 v4, v16, v18, s[46:47]                   // 000000009234: D1000004 00BA2510
	v_cmp_u_f32_e64 s[46:47], v69, v69                         // 00000000923C: D048002E 00028B45
	v_add3_u32 v16, v69, v19, 1                                // 000000009244: D1FF0010 02062745
	v_cndmask_b32_e64 v5, v16, v18, s[46:47]                   // 00000000924C: D1000005 00BA2510
	v_perm_b32 v62, v5, v4, s52                                // 000000009254: D1ED003E 00D20905
	v_cmp_u_f32_e64 s[46:47], v70, v70                         // 00000000925C: D048002E 00028D46
	v_add3_u32 v16, v70, v19, 1                                // 000000009264: D1FF0010 02062746
	v_cndmask_b32_e64 v4, v16, v18, s[46:47]                   // 00000000926C: D1000004 00BA2510
	v_cmp_u_f32_e64 s[46:47], v71, v71                         // 000000009274: D048002E 00028F47
	v_add3_u32 v16, v71, v19, 1                                // 00000000927C: D1FF0010 02062747
	v_cndmask_b32_e64 v5, v16, v18, s[46:47]                   // 000000009284: D1000005 00BA2510
	v_perm_b32 v63, v5, v4, s52                                // 00000000928C: D1ED003F 00D20905
	v_cmp_u_f32_e64 s[46:47], v72, v72                         // 000000009294: D048002E 00029148
	v_add3_u32 v16, v72, v19, 1                                // 00000000929C: D1FF0010 02062748
	v_cndmask_b32_e64 v4, v16, v18, s[46:47]                   // 0000000092A4: D1000004 00BA2510
	v_cmp_u_f32_e64 s[46:47], v73, v73                         // 0000000092AC: D048002E 00029349
	v_add3_u32 v16, v73, v19, 1                                // 0000000092B4: D1FF0010 02062749
	v_cndmask_b32_e64 v5, v16, v18, s[46:47]                   // 0000000092BC: D1000005 00BA2510
	v_perm_b32 v64, v5, v4, s52                                // 0000000092C4: D1ED0040 00D20905
	v_cmp_u_f32_e64 s[46:47], v74, v74                         // 0000000092CC: D048002E 0002954A
	v_add3_u32 v16, v74, v19, 1                                // 0000000092D4: D1FF0010 0206274A
	v_cndmask_b32_e64 v4, v16, v18, s[46:47]                   // 0000000092DC: D1000004 00BA2510
	v_cmp_u_f32_e64 s[46:47], v75, v75                         // 0000000092E4: D048002E 0002974B
	v_add3_u32 v16, v75, v19, 1                                // 0000000092EC: D1FF0010 0206274B
	v_cndmask_b32_e64 v5, v16, v18, s[46:47]                   // 0000000092F4: D1000005 00BA2510
	v_perm_b32 v65, v5, v4, s52                                // 0000000092FC: D1ED0041 00D20905
	v_cmp_u_f32_e64 s[46:47], v76, v76                         // 000000009304: D048002E 0002994C
	v_add3_u32 v16, v76, v19, 1                                // 00000000930C: D1FF0010 0206274C
	v_cndmask_b32_e64 v4, v16, v18, s[46:47]                   // 000000009314: D1000004 00BA2510
	v_cmp_u_f32_e64 s[46:47], v77, v77                         // 00000000931C: D048002E 00029B4D
	v_add3_u32 v16, v77, v19, 1                                // 000000009324: D1FF0010 0206274D
	v_cndmask_b32_e64 v5, v16, v18, s[46:47]                   // 00000000932C: D1000005 00BA2510
	v_perm_b32 v66, v5, v4, s52                                // 000000009334: D1ED0042 00D20905
	v_cmp_u_f32_e64 s[46:47], v78, v78                         // 00000000933C: D048002E 00029D4E
	v_add3_u32 v16, v78, v19, 1                                // 000000009344: D1FF0010 0206274E
	v_cndmask_b32_e64 v4, v16, v18, s[46:47]                   // 00000000934C: D1000004 00BA2510
	v_cmp_u_f32_e64 s[46:47], v79, v79                         // 000000009354: D048002E 00029F4F
	v_add3_u32 v16, v79, v19, 1                                // 00000000935C: D1FF0010 0206274F
	v_cndmask_b32_e64 v5, v16, v18, s[46:47]                   // 000000009364: D1000005 00BA2510
	v_perm_b32 v67, v5, v4, s52                                // 00000000936C: D1ED0043 00D20905
	v_cmp_u_f32_e64 s[46:47], v80, v80                         // 000000009374: D048002E 0002A150
	v_add3_u32 v16, v80, v19, 1                                // 00000000937C: D1FF0010 02062750
	v_cndmask_b32_e64 v4, v16, v18, s[46:47]                   // 000000009384: D1000004 00BA2510
	v_cmp_u_f32_e64 s[46:47], v81, v81                         // 00000000938C: D048002E 0002A351
	v_add3_u32 v16, v81, v19, 1                                // 000000009394: D1FF0010 02062751
	v_cndmask_b32_e64 v5, v16, v18, s[46:47]                   // 00000000939C: D1000005 00BA2510
	v_perm_b32 v68, v5, v4, s52                                // 0000000093A4: D1ED0044 00D20905
	v_cmp_u_f32_e64 s[46:47], v82, v82                         // 0000000093AC: D048002E 0002A552
	v_add3_u32 v16, v82, v19, 1                                // 0000000093B4: D1FF0010 02062752
	v_cndmask_b32_e64 v4, v16, v18, s[46:47]                   // 0000000093BC: D1000004 00BA2510
	v_cmp_u_f32_e64 s[46:47], v83, v83                         // 0000000093C4: D048002E 0002A753
	v_add3_u32 v16, v83, v19, 1                                // 0000000093CC: D1FF0010 02062753
	v_cndmask_b32_e64 v5, v16, v18, s[46:47]                   // 0000000093D4: D1000005 00BA2510
	v_perm_b32 v69, v5, v4, s52                                // 0000000093DC: D1ED0045 00D20905
	v_cmp_u_f32_e64 s[46:47], v84, v84                         // 0000000093E4: D048002E 0002A954
	v_add3_u32 v16, v84, v19, 1                                // 0000000093EC: D1FF0010 02062754
	v_cndmask_b32_e64 v4, v16, v18, s[46:47]                   // 0000000093F4: D1000004 00BA2510
	v_cmp_u_f32_e64 s[46:47], v85, v85                         // 0000000093FC: D048002E 0002AB55
	v_add3_u32 v16, v85, v19, 1                                // 000000009404: D1FF0010 02062755
	v_cndmask_b32_e64 v5, v16, v18, s[46:47]                   // 00000000940C: D1000005 00BA2510
	v_perm_b32 v70, v5, v4, s52                                // 000000009414: D1ED0046 00D20905
	v_cmp_u_f32_e64 s[46:47], v86, v86                         // 00000000941C: D048002E 0002AD56
	v_add3_u32 v16, v86, v19, 1                                // 000000009424: D1FF0010 02062756
	v_cndmask_b32_e64 v4, v16, v18, s[46:47]                   // 00000000942C: D1000004 00BA2510
	v_cmp_u_f32_e64 s[46:47], v87, v87                         // 000000009434: D048002E 0002AF57
	v_add3_u32 v16, v87, v19, 1                                // 00000000943C: D1FF0010 02062757
	v_cndmask_b32_e64 v5, v16, v18, s[46:47]                   // 000000009444: D1000005 00BA2510
	v_perm_b32 v71, v5, v4, s52                                // 00000000944C: D1ED0047 00D20905
	ds_write_b64 v20, v[56:57]                                 // 000000009454: D89A0000 00003814
	ds_write_b64 v20, v[58:59] offset:4352                     // 00000000945C: D89A1100 00003A14
	ds_write_b64 v20, v[60:61] offset:8704                     // 000000009464: D89A2200 00003C14
	ds_write_b64 v20, v[62:63] offset:13056                    // 00000000946C: D89A3300 00003E14
	ds_write_b64 v20, v[64:65] offset:2176                     // 000000009474: D89A0880 00004014
	ds_write_b64 v20, v[66:67] offset:6528                     // 00000000947C: D89A1980 00004214
	ds_write_b64 v20, v[68:69] offset:10880                    // 000000009484: D89A2A80 00004414
	ds_write_b64 v20, v[70:71] offset:15232                    // 00000000948C: D89A3B80 00004614
	v_lshrrev_b32_e32 v4, 5, v0                                // 000000009494: 20080085
	v_xor_b32_e32 v5, 1, v4                                    // 000000009498: 2A0A0881
	s_mul_i32 s60, s65, 2                                      // 00000000949C: 923C8241
	s_cmp_eq_u32 s88, 0                                        // 0000000094A0: BF068058
	s_cselect_b32 s61, 1, 4                                    // 0000000094A4: 853D8481
	s_mul_i32 s60, s61, s60                                    // 0000000094A8: 923C3C3D
	v_readlane_b32 s82, v3, 0                                  // 0000000094AC: D2890052 00010103
	s_lshr_b32 s61, s82, 24                                    // 0000000094B4: 8F3D9852
	s_and_b32 s82, s82, 0xffffff                               // 0000000094B8: 8652FF52 00FFFFFF
	s_mul_i32 s82, s82, s71                                    // 0000000094C0: 92524752
	s_mul_i32 s61, s60, s61                                    // 0000000094C4: 923D3D3C
	s_add_u32 s82, s82, s61                                    // 0000000094C8: 80523D52
	v_mul_lo_u32 v6, v5, s82                                   // 0000000094CC: D2850006 0000A505
	v_readlane_b32 s82, v3, 1                                  // 0000000094D4: D2890052 00010303
	s_lshr_b32 s61, s82, 24                                    // 0000000094DC: 8F3D9852
	s_and_b32 s82, s82, 0xffffff                               // 0000000094E0: 8652FF52 00FFFFFF
	s_mul_i32 s82, s82, s71                                    // 0000000094E8: 92524752
	s_mul_i32 s61, s60, s61                                    // 0000000094EC: 923D3D3C
	s_add_u32 s82, s82, s61                                    // 0000000094F0: 80523D52
	v_mul_lo_u32 v7, v4, s82                                   // 0000000094F4: D2850007 0000A504
	v_add_u32_e32 v46, v6, v7                                  // 0000000094FC: 685C0F06
	v_readlane_b32 s82, v3, 2                                  // 000000009500: D2890052 00010503
	s_lshr_b32 s61, s82, 24                                    // 000000009508: 8F3D9852
	s_and_b32 s82, s82, 0xffffff                               // 00000000950C: 8652FF52 00FFFFFF
	s_mul_i32 s82, s82, s71                                    // 000000009514: 92524752
	s_mul_i32 s61, s60, s61                                    // 000000009518: 923D3D3C
	s_add_u32 s82, s82, s61                                    // 00000000951C: 80523D52
	v_mul_lo_u32 v6, v5, s82                                   // 000000009520: D2850006 0000A505
	v_readlane_b32 s82, v3, 3                                  // 000000009528: D2890052 00010703
	s_lshr_b32 s61, s82, 24                                    // 000000009530: 8F3D9852
	s_and_b32 s82, s82, 0xffffff                               // 000000009534: 8652FF52 00FFFFFF
	s_mul_i32 s82, s82, s71                                    // 00000000953C: 92524752
	s_mul_i32 s61, s60, s61                                    // 000000009540: 923D3D3C
	s_add_u32 s82, s82, s61                                    // 000000009544: 80523D52
	v_mul_lo_u32 v7, v4, s82                                   // 000000009548: D2850007 0000A504
	v_add_u32_e32 v47, v6, v7                                  // 000000009550: 685E0F06
	v_readlane_b32 s82, v3, 4                                  // 000000009554: D2890052 00010903
	s_lshr_b32 s61, s82, 24                                    // 00000000955C: 8F3D9852
	s_and_b32 s82, s82, 0xffffff                               // 000000009560: 8652FF52 00FFFFFF
	s_mul_i32 s82, s82, s71                                    // 000000009568: 92524752
	s_mul_i32 s61, s60, s61                                    // 00000000956C: 923D3D3C
	s_add_u32 s82, s82, s61                                    // 000000009570: 80523D52
	v_mul_lo_u32 v6, v5, s82                                   // 000000009574: D2850006 0000A505
	v_readlane_b32 s82, v3, 5                                  // 00000000957C: D2890052 00010B03
	s_lshr_b32 s61, s82, 24                                    // 000000009584: 8F3D9852
	s_and_b32 s82, s82, 0xffffff                               // 000000009588: 8652FF52 00FFFFFF
	s_mul_i32 s82, s82, s71                                    // 000000009590: 92524752
	s_mul_i32 s61, s60, s61                                    // 000000009594: 923D3D3C
	s_add_u32 s82, s82, s61                                    // 000000009598: 80523D52
	v_mul_lo_u32 v7, v4, s82                                   // 00000000959C: D2850007 0000A504
	v_add_u32_e32 v48, v6, v7                                  // 0000000095A4: 68600F06
	v_readlane_b32 s82, v3, 6                                  // 0000000095A8: D2890052 00010D03
	s_lshr_b32 s61, s82, 24                                    // 0000000095B0: 8F3D9852
	s_and_b32 s82, s82, 0xffffff                               // 0000000095B4: 8652FF52 00FFFFFF
	s_mul_i32 s82, s82, s71                                    // 0000000095BC: 92524752
	s_mul_i32 s61, s60, s61                                    // 0000000095C0: 923D3D3C
	s_add_u32 s82, s82, s61                                    // 0000000095C4: 80523D52
	v_mul_lo_u32 v6, v5, s82                                   // 0000000095C8: D2850006 0000A505
	v_readlane_b32 s82, v3, 7                                  // 0000000095D0: D2890052 00010F03
	s_lshr_b32 s61, s82, 24                                    // 0000000095D8: 8F3D9852
	s_and_b32 s82, s82, 0xffffff                               // 0000000095DC: 8652FF52 00FFFFFF
	s_mul_i32 s82, s82, s71                                    // 0000000095E4: 92524752
	s_mul_i32 s61, s60, s61                                    // 0000000095E8: 923D3D3C
	s_add_u32 s82, s82, s61                                    // 0000000095EC: 80523D52
	v_mul_lo_u32 v7, v4, s82                                   // 0000000095F0: D2850007 0000A504
	v_add_u32_e32 v49, v6, v7                                  // 0000000095F8: 68620F06
	v_readlane_b32 s82, v3, 8                                  // 0000000095FC: D2890052 00011103
	s_lshr_b32 s61, s82, 24                                    // 000000009604: 8F3D9852
	s_and_b32 s82, s82, 0xffffff                               // 000000009608: 8652FF52 00FFFFFF
	s_mul_i32 s82, s82, s71                                    // 000000009610: 92524752
	s_mul_i32 s61, s60, s61                                    // 000000009614: 923D3D3C
	s_add_u32 s82, s82, s61                                    // 000000009618: 80523D52
	v_mul_lo_u32 v6, v5, s82                                   // 00000000961C: D2850006 0000A505
	v_readlane_b32 s82, v3, 9                                  // 000000009624: D2890052 00011303
	s_lshr_b32 s61, s82, 24                                    // 00000000962C: 8F3D9852
	s_and_b32 s82, s82, 0xffffff                               // 000000009630: 8652FF52 00FFFFFF
	s_mul_i32 s82, s82, s71                                    // 000000009638: 92524752
	s_mul_i32 s61, s60, s61                                    // 00000000963C: 923D3D3C
	s_add_u32 s82, s82, s61                                    // 000000009640: 80523D52
	v_mul_lo_u32 v7, v4, s82                                   // 000000009644: D2850007 0000A504
	v_add_u32_e32 v50, v6, v7                                  // 00000000964C: 68640F06
	v_readlane_b32 s82, v3, 10                                 // 000000009650: D2890052 00011503
	s_lshr_b32 s61, s82, 24                                    // 000000009658: 8F3D9852
	s_and_b32 s82, s82, 0xffffff                               // 00000000965C: 8652FF52 00FFFFFF
	s_mul_i32 s82, s82, s71                                    // 000000009664: 92524752
	s_mul_i32 s61, s60, s61                                    // 000000009668: 923D3D3C
	s_add_u32 s82, s82, s61                                    // 00000000966C: 80523D52
	v_mul_lo_u32 v6, v5, s82                                   // 000000009670: D2850006 0000A505
	v_readlane_b32 s82, v3, 11                                 // 000000009678: D2890052 00011703
	s_lshr_b32 s61, s82, 24                                    // 000000009680: 8F3D9852
	s_and_b32 s82, s82, 0xffffff                               // 000000009684: 8652FF52 00FFFFFF
	s_mul_i32 s82, s82, s71                                    // 00000000968C: 92524752
	s_mul_i32 s61, s60, s61                                    // 000000009690: 923D3D3C
	s_add_u32 s82, s82, s61                                    // 000000009694: 80523D52
	v_mul_lo_u32 v7, v4, s82                                   // 000000009698: D2850007 0000A504
	v_add_u32_e32 v51, v6, v7                                  // 0000000096A0: 68660F06
	v_readlane_b32 s82, v3, 12                                 // 0000000096A4: D2890052 00011903
	s_lshr_b32 s61, s82, 24                                    // 0000000096AC: 8F3D9852
	s_and_b32 s82, s82, 0xffffff                               // 0000000096B0: 8652FF52 00FFFFFF
	s_mul_i32 s82, s82, s71                                    // 0000000096B8: 92524752
	s_mul_i32 s61, s60, s61                                    // 0000000096BC: 923D3D3C
	s_add_u32 s82, s82, s61                                    // 0000000096C0: 80523D52
	v_mul_lo_u32 v6, v5, s82                                   // 0000000096C4: D2850006 0000A505
	v_readlane_b32 s82, v3, 13                                 // 0000000096CC: D2890052 00011B03
	s_lshr_b32 s61, s82, 24                                    // 0000000096D4: 8F3D9852
	s_and_b32 s82, s82, 0xffffff                               // 0000000096D8: 8652FF52 00FFFFFF
	s_mul_i32 s82, s82, s71                                    // 0000000096E0: 92524752
	s_mul_i32 s61, s60, s61                                    // 0000000096E4: 923D3D3C
	s_add_u32 s82, s82, s61                                    // 0000000096E8: 80523D52
	v_mul_lo_u32 v7, v4, s82                                   // 0000000096EC: D2850007 0000A504
	v_add_u32_e32 v52, v6, v7                                  // 0000000096F4: 68680F06
	v_readlane_b32 s82, v3, 14                                 // 0000000096F8: D2890052 00011D03
	s_lshr_b32 s61, s82, 24                                    // 000000009700: 8F3D9852
	s_and_b32 s82, s82, 0xffffff                               // 000000009704: 8652FF52 00FFFFFF
	s_mul_i32 s82, s82, s71                                    // 00000000970C: 92524752
	s_mul_i32 s61, s60, s61                                    // 000000009710: 923D3D3C
	s_add_u32 s82, s82, s61                                    // 000000009714: 80523D52
	v_mul_lo_u32 v6, v5, s82                                   // 000000009718: D2850006 0000A505
	v_readlane_b32 s82, v3, 15                                 // 000000009720: D2890052 00011F03
	s_lshr_b32 s61, s82, 24                                    // 000000009728: 8F3D9852
	s_and_b32 s82, s82, 0xffffff                               // 00000000972C: 8652FF52 00FFFFFF
	s_mul_i32 s82, s82, s71                                    // 000000009734: 92524752
	s_mul_i32 s61, s60, s61                                    // 000000009738: 923D3D3C
	s_add_u32 s82, s82, s61                                    // 00000000973C: 80523D52
	v_mul_lo_u32 v7, v4, s82                                   // 000000009740: D2850007 0000A504
	v_add_u32_e32 v53, v6, v7                                  // 000000009748: 686A0F06
	v_and_b32_e32 v4, 31, v0                                   // 00000000974C: 2608009F
	v_lshrrev_b32_e32 v4, 1, v4                                // 000000009750: 20080881
	s_cmp_eq_u32 s88, 0                                        // 000000009754: BF068058
	s_cselect_b32 s61, 2, 4                                    // 000000009758: 853D8482
	v_mul_lo_u32 v4, v4, s61                                   // 00000000975C: D2850004 00007B04
	v_and_b32_e64 v5, v0, 1                                    // 000000009764: D1130005 00010300
	v_add_u32_e32 v4, v4, v5                                   // 00000000976C: 68080B04
	v_lshlrev_b32_e32 v4, 2, v4                                // 000000009770: 24080882
	v_add_u32_e32 v46, v46, v4                                 // 000000009774: 685C092E
	v_add_u32_e32 v47, v47, v4                                 // 000000009778: 685E092F
	v_add_u32_e32 v48, v48, v4                                 // 00000000977C: 68600930
	v_add_u32_e32 v49, v49, v4                                 // 000000009780: 68620931
	v_add_u32_e32 v50, v50, v4                                 // 000000009784: 68640932
	v_add_u32_e32 v51, v51, v4                                 // 000000009788: 68660933
	v_add_u32_e32 v52, v52, v4                                 // 00000000978C: 68680934
	v_add_u32_e32 v53, v53, v4                                 // 000000009790: 686A0935
	s_waitcnt lgkmcnt(0)                                       // 000000009794: BF8CC07F
	s_barrier                                                  // 000000009798: BF8A0000
	ds_read_b32 v56, v21                                       // 00000000979C: D86C0000 38000015
	ds_read_b32 v57, v21 offset:64                             // 0000000097A4: D86C0040 39000015
	ds_read_b32 v58, v21 offset:2176                           // 0000000097AC: D86C0880 3A000015
	ds_read_b32 v59, v21 offset:2240                           // 0000000097B4: D86C08C0 3B000015
	ds_read_b32 v60, v21 offset:4352                           // 0000000097BC: D86C1100 3C000015
	ds_read_b32 v61, v21 offset:4416                           // 0000000097C4: D86C1140 3D000015
	ds_read_b32 v62, v21 offset:6528                           // 0000000097CC: D86C1980 3E000015
	ds_read_b32 v63, v21 offset:6592                           // 0000000097D4: D86C19C0 3F000015
	ds_read_b32 v64, v21 offset:8704                           // 0000000097DC: D86C2200 40000015
	ds_read_b32 v65, v21 offset:8768                           // 0000000097E4: D86C2240 41000015
	ds_read_b32 v66, v21 offset:10880                          // 0000000097EC: D86C2A80 42000015
	ds_read_b32 v67, v21 offset:10944                          // 0000000097F4: D86C2AC0 43000015
	ds_read_b32 v68, v21 offset:13056                          // 0000000097FC: D86C3300 44000015
	ds_read_b32 v69, v21 offset:13120                          // 000000009804: D86C3340 45000015
	ds_read_b32 v70, v21 offset:15232                          // 00000000980C: D86C3B80 46000015
	ds_read_b32 v71, v21 offset:15296                          // 000000009814: D86C3BC0 47000015
	s_waitcnt lgkmcnt(0)                                       // 00000000981C: BF8CC07F
	s_mov_b32 s36, -1                                          // 000000009820: BEA400C1
	s_mov_b32 s37, -1                                          // 000000009824: BEA500C1
	v_mov_b32_e32 v7, 0                                        // 000000009828: 7E0E0280
	s_or_b32 s9, s9, 0x40000                                   // 00000000982C: 8709FF09 00040000
	s_mov_b64 exec, s[36:37]                                   // 000000009834: BEFE0124
	v_mov_b32_e32 v6, v46                                      // 000000009838: 7E0C032E
	s_mov_b64 s[60:61], 0                                      // 00000000983C: BEBC0180
	v_readlane_b32 s82, v3, 0                                  // 000000009840: D2890052 00010103
	s_and_b32 s82, s82, 0xffffff                               // 000000009848: 8652FF52 00FFFFFF
	s_cmp_lt_u32 s82, s66                                      // 000000009850: BF0A4252
	s_cselect_b32 s20, s36, s60                                // 000000009854: 85143C24
	v_readlane_b32 s82, v3, 1                                  // 000000009858: D2890052 00010303
	s_and_b32 s82, s82, 0xffffff                               // 000000009860: 8652FF52 00FFFFFF
	s_cmp_lt_u32 s82, s66                                      // 000000009868: BF0A4252
	s_cselect_b32 s21, s36, s60                                // 00000000986C: 85153C24
	s_mov_b64 exec, s[20:21]                                   // 000000009870: BEFE0114
	buffer_store_dword v56, v6, s[8:11], 0 offen               // 000000009874: E0701000 80023806
	buffer_store_dword v58, v6, s[8:11], 0 offen offset:128    // 00000000987C: E0701080 80023A06
	s_mov_b64 exec, s[36:37]                                   // 000000009884: BEFE0124
	v_mov_b32_e32 v6, v47                                      // 000000009888: 7E0C032F
	s_mov_b64 s[60:61], 0                                      // 00000000988C: BEBC0180
	v_readlane_b32 s82, v3, 2                                  // 000000009890: D2890052 00010503
	s_and_b32 s82, s82, 0xffffff                               // 000000009898: 8652FF52 00FFFFFF
	s_cmp_lt_u32 s82, s66                                      // 0000000098A0: BF0A4252
	s_cselect_b32 s20, s36, s60                                // 0000000098A4: 85143C24
	v_readlane_b32 s82, v3, 3                                  // 0000000098A8: D2890052 00010703
	s_and_b32 s82, s82, 0xffffff                               // 0000000098B0: 8652FF52 00FFFFFF
	s_cmp_lt_u32 s82, s66                                      // 0000000098B8: BF0A4252
	s_cselect_b32 s21, s36, s60                                // 0000000098BC: 85153C24
	s_mov_b64 exec, s[20:21]                                   // 0000000098C0: BEFE0114
	buffer_store_dword v57, v6, s[8:11], 0 offen               // 0000000098C4: E0701000 80023906
	buffer_store_dword v59, v6, s[8:11], 0 offen offset:128    // 0000000098CC: E0701080 80023B06
	s_mov_b64 exec, s[36:37]                                   // 0000000098D4: BEFE0124
	v_mov_b32_e32 v6, v48                                      // 0000000098D8: 7E0C0330
	s_mov_b64 s[60:61], 0                                      // 0000000098DC: BEBC0180
	v_readlane_b32 s82, v3, 4                                  // 0000000098E0: D2890052 00010903
	s_and_b32 s82, s82, 0xffffff                               // 0000000098E8: 8652FF52 00FFFFFF
	s_cmp_lt_u32 s82, s66                                      // 0000000098F0: BF0A4252
	s_cselect_b32 s20, s36, s60                                // 0000000098F4: 85143C24
	v_readlane_b32 s82, v3, 5                                  // 0000000098F8: D2890052 00010B03
	s_and_b32 s82, s82, 0xffffff                               // 000000009900: 8652FF52 00FFFFFF
	s_cmp_lt_u32 s82, s66                                      // 000000009908: BF0A4252
	s_cselect_b32 s21, s36, s60                                // 00000000990C: 85153C24
	s_mov_b64 exec, s[20:21]                                   // 000000009910: BEFE0114
	buffer_store_dword v60, v6, s[8:11], 0 offen               // 000000009914: E0701000 80023C06
	buffer_store_dword v62, v6, s[8:11], 0 offen offset:128    // 00000000991C: E0701080 80023E06
	s_mov_b64 exec, s[36:37]                                   // 000000009924: BEFE0124
	v_mov_b32_e32 v6, v49                                      // 000000009928: 7E0C0331
	s_mov_b64 s[60:61], 0                                      // 00000000992C: BEBC0180
	v_readlane_b32 s82, v3, 6                                  // 000000009930: D2890052 00010D03
	s_and_b32 s82, s82, 0xffffff                               // 000000009938: 8652FF52 00FFFFFF
	s_cmp_lt_u32 s82, s66                                      // 000000009940: BF0A4252
	s_cselect_b32 s20, s36, s60                                // 000000009944: 85143C24
	v_readlane_b32 s82, v3, 7                                  // 000000009948: D2890052 00010F03
	s_and_b32 s82, s82, 0xffffff                               // 000000009950: 8652FF52 00FFFFFF
	s_cmp_lt_u32 s82, s66                                      // 000000009958: BF0A4252
	s_cselect_b32 s21, s36, s60                                // 00000000995C: 85153C24
	s_mov_b64 exec, s[20:21]                                   // 000000009960: BEFE0114
	buffer_store_dword v61, v6, s[8:11], 0 offen               // 000000009964: E0701000 80023D06
	buffer_store_dword v63, v6, s[8:11], 0 offen offset:128    // 00000000996C: E0701080 80023F06
	s_mov_b64 exec, s[36:37]                                   // 000000009974: BEFE0124
	v_mov_b32_e32 v6, v50                                      // 000000009978: 7E0C0332
	s_mov_b64 s[60:61], 0                                      // 00000000997C: BEBC0180
	v_readlane_b32 s82, v3, 8                                  // 000000009980: D2890052 00011103
	s_and_b32 s82, s82, 0xffffff                               // 000000009988: 8652FF52 00FFFFFF
	s_cmp_lt_u32 s82, s66                                      // 000000009990: BF0A4252
	s_cselect_b32 s20, s36, s60                                // 000000009994: 85143C24
	v_readlane_b32 s82, v3, 9                                  // 000000009998: D2890052 00011303
	s_and_b32 s82, s82, 0xffffff                               // 0000000099A0: 8652FF52 00FFFFFF
	s_cmp_lt_u32 s82, s66                                      // 0000000099A8: BF0A4252
	s_cselect_b32 s21, s36, s60                                // 0000000099AC: 85153C24
	s_mov_b64 exec, s[20:21]                                   // 0000000099B0: BEFE0114
	buffer_store_dword v64, v6, s[8:11], 0 offen               // 0000000099B4: E0701000 80024006
	buffer_store_dword v66, v6, s[8:11], 0 offen offset:128    // 0000000099BC: E0701080 80024206
	s_mov_b64 exec, s[36:37]                                   // 0000000099C4: BEFE0124
	v_mov_b32_e32 v6, v51                                      // 0000000099C8: 7E0C0333
	s_mov_b64 s[60:61], 0                                      // 0000000099CC: BEBC0180
	v_readlane_b32 s82, v3, 10                                 // 0000000099D0: D2890052 00011503
	s_and_b32 s82, s82, 0xffffff                               // 0000000099D8: 8652FF52 00FFFFFF
	s_cmp_lt_u32 s82, s66                                      // 0000000099E0: BF0A4252
	s_cselect_b32 s20, s36, s60                                // 0000000099E4: 85143C24
	v_readlane_b32 s82, v3, 11                                 // 0000000099E8: D2890052 00011703
	s_and_b32 s82, s82, 0xffffff                               // 0000000099F0: 8652FF52 00FFFFFF
	s_cmp_lt_u32 s82, s66                                      // 0000000099F8: BF0A4252
	s_cselect_b32 s21, s36, s60                                // 0000000099FC: 85153C24
	s_mov_b64 exec, s[20:21]                                   // 000000009A00: BEFE0114
	buffer_store_dword v65, v6, s[8:11], 0 offen               // 000000009A04: E0701000 80024106
	buffer_store_dword v67, v6, s[8:11], 0 offen offset:128    // 000000009A0C: E0701080 80024306
	s_mov_b64 exec, s[36:37]                                   // 000000009A14: BEFE0124
	v_mov_b32_e32 v6, v52                                      // 000000009A18: 7E0C0334
	s_mov_b64 s[60:61], 0                                      // 000000009A1C: BEBC0180
	v_readlane_b32 s82, v3, 12                                 // 000000009A20: D2890052 00011903
	s_and_b32 s82, s82, 0xffffff                               // 000000009A28: 8652FF52 00FFFFFF
	s_cmp_lt_u32 s82, s66                                      // 000000009A30: BF0A4252
	s_cselect_b32 s20, s36, s60                                // 000000009A34: 85143C24
	v_readlane_b32 s82, v3, 13                                 // 000000009A38: D2890052 00011B03
	s_and_b32 s82, s82, 0xffffff                               // 000000009A40: 8652FF52 00FFFFFF
	s_cmp_lt_u32 s82, s66                                      // 000000009A48: BF0A4252
	s_cselect_b32 s21, s36, s60                                // 000000009A4C: 85153C24
	s_mov_b64 exec, s[20:21]                                   // 000000009A50: BEFE0114
	buffer_store_dword v68, v6, s[8:11], 0 offen               // 000000009A54: E0701000 80024406
	buffer_store_dword v70, v6, s[8:11], 0 offen offset:128    // 000000009A5C: E0701080 80024606
	s_mov_b64 exec, s[36:37]                                   // 000000009A64: BEFE0124
	v_mov_b32_e32 v6, v53                                      // 000000009A68: 7E0C0335
	s_mov_b64 s[60:61], 0                                      // 000000009A6C: BEBC0180
	v_readlane_b32 s82, v3, 14                                 // 000000009A70: D2890052 00011D03
	s_and_b32 s82, s82, 0xffffff                               // 000000009A78: 8652FF52 00FFFFFF
	s_cmp_lt_u32 s82, s66                                      // 000000009A80: BF0A4252
	s_cselect_b32 s20, s36, s60                                // 000000009A84: 85143C24
	v_readlane_b32 s82, v3, 15                                 // 000000009A88: D2890052 00011F03
	s_and_b32 s82, s82, 0xffffff                               // 000000009A90: 8652FF52 00FFFFFF
	s_cmp_lt_u32 s82, s66                                      // 000000009A98: BF0A4252
	s_cselect_b32 s21, s36, s60                                // 000000009A9C: 85153C24
	s_mov_b64 exec, s[20:21]                                   // 000000009AA0: BEFE0114
	buffer_store_dword v69, v6, s[8:11], 0 offen               // 000000009AA4: E0701000 80024506
	buffer_store_dword v71, v6, s[8:11], 0 offen offset:128    // 000000009AAC: E0701080 80024706
	s_mov_b64 exec, s[36:37]                                   // 000000009AB4: BEFE0124
	s_branch label_204C                                        // 000000009AB8: BF82041A

0000000000009abc <label_1C32>:
	ds_write_b64 v20, v[56:57]                                 // 000000009ABC: D89A0000 00003814
	ds_write_b64 v20, v[60:61] offset:4352                     // 000000009AC4: D89A1100 00003C14
	ds_write_b64 v20, v[64:65] offset:8704                     // 000000009ACC: D89A2200 00004014
	ds_write_b64 v20, v[68:69] offset:13056                    // 000000009AD4: D89A3300 00004414
	ds_write_b64 v20, v[72:73] offset:2176                     // 000000009ADC: D89A0880 00004814
	ds_write_b64 v20, v[76:77] offset:6528                     // 000000009AE4: D89A1980 00004C14
	ds_write_b64 v20, v[80:81] offset:10880                    // 000000009AEC: D89A2A80 00005014
	ds_write_b64 v20, v[84:85] offset:15232                    // 000000009AF4: D89A3B80 00005414
	v_lshrrev_b32_e32 v4, 5, v0                                // 000000009AFC: 20080085
	v_xor_b32_e32 v5, 1, v4                                    // 000000009B00: 2A0A0881
	s_mul_i32 s60, s65, 2                                      // 000000009B04: 923C8241
	s_cmp_eq_u32 s88, 0                                        // 000000009B08: BF068058
	s_cselect_b32 s61, 1, 4                                    // 000000009B0C: 853D8481
	s_mul_i32 s60, s61, s60                                    // 000000009B10: 923C3C3D
	v_readlane_b32 s82, v3, 0                                  // 000000009B14: D2890052 00010103
	s_lshr_b32 s61, s82, 24                                    // 000000009B1C: 8F3D9852
	s_and_b32 s82, s82, 0xffffff                               // 000000009B20: 8652FF52 00FFFFFF
	s_mul_i32 s82, s82, s71                                    // 000000009B28: 92524752
	s_mul_i32 s61, s60, s61                                    // 000000009B2C: 923D3D3C
	s_add_u32 s82, s82, s61                                    // 000000009B30: 80523D52
	v_mul_lo_u32 v6, v5, s82                                   // 000000009B34: D2850006 0000A505
	v_readlane_b32 s82, v3, 1                                  // 000000009B3C: D2890052 00010303
	s_lshr_b32 s61, s82, 24                                    // 000000009B44: 8F3D9852
	s_and_b32 s82, s82, 0xffffff                               // 000000009B48: 8652FF52 00FFFFFF
	s_mul_i32 s82, s82, s71                                    // 000000009B50: 92524752
	s_mul_i32 s61, s60, s61                                    // 000000009B54: 923D3D3C
	s_add_u32 s82, s82, s61                                    // 000000009B58: 80523D52
	v_mul_lo_u32 v7, v4, s82                                   // 000000009B5C: D2850007 0000A504
	v_add_u32_e32 v46, v6, v7                                  // 000000009B64: 685C0F06
	v_readlane_b32 s82, v3, 2                                  // 000000009B68: D2890052 00010503
	s_lshr_b32 s61, s82, 24                                    // 000000009B70: 8F3D9852
	s_and_b32 s82, s82, 0xffffff                               // 000000009B74: 8652FF52 00FFFFFF
	s_mul_i32 s82, s82, s71                                    // 000000009B7C: 92524752
	s_mul_i32 s61, s60, s61                                    // 000000009B80: 923D3D3C
	s_add_u32 s82, s82, s61                                    // 000000009B84: 80523D52
	v_mul_lo_u32 v6, v5, s82                                   // 000000009B88: D2850006 0000A505
	v_readlane_b32 s82, v3, 3                                  // 000000009B90: D2890052 00010703
	s_lshr_b32 s61, s82, 24                                    // 000000009B98: 8F3D9852
	s_and_b32 s82, s82, 0xffffff                               // 000000009B9C: 8652FF52 00FFFFFF
	s_mul_i32 s82, s82, s71                                    // 000000009BA4: 92524752
	s_mul_i32 s61, s60, s61                                    // 000000009BA8: 923D3D3C
	s_add_u32 s82, s82, s61                                    // 000000009BAC: 80523D52
	v_mul_lo_u32 v7, v4, s82                                   // 000000009BB0: D2850007 0000A504
	v_add_u32_e32 v47, v6, v7                                  // 000000009BB8: 685E0F06
	v_readlane_b32 s82, v3, 4                                  // 000000009BBC: D2890052 00010903
	s_lshr_b32 s61, s82, 24                                    // 000000009BC4: 8F3D9852
	s_and_b32 s82, s82, 0xffffff                               // 000000009BC8: 8652FF52 00FFFFFF
	s_mul_i32 s82, s82, s71                                    // 000000009BD0: 92524752
	s_mul_i32 s61, s60, s61                                    // 000000009BD4: 923D3D3C
	s_add_u32 s82, s82, s61                                    // 000000009BD8: 80523D52
	v_mul_lo_u32 v6, v5, s82                                   // 000000009BDC: D2850006 0000A505
	v_readlane_b32 s82, v3, 5                                  // 000000009BE4: D2890052 00010B03
	s_lshr_b32 s61, s82, 24                                    // 000000009BEC: 8F3D9852
	s_and_b32 s82, s82, 0xffffff                               // 000000009BF0: 8652FF52 00FFFFFF
	s_mul_i32 s82, s82, s71                                    // 000000009BF8: 92524752
	s_mul_i32 s61, s60, s61                                    // 000000009BFC: 923D3D3C
	s_add_u32 s82, s82, s61                                    // 000000009C00: 80523D52
	v_mul_lo_u32 v7, v4, s82                                   // 000000009C04: D2850007 0000A504
	v_add_u32_e32 v48, v6, v7                                  // 000000009C0C: 68600F06
	v_readlane_b32 s82, v3, 6                                  // 000000009C10: D2890052 00010D03
	s_lshr_b32 s61, s82, 24                                    // 000000009C18: 8F3D9852
	s_and_b32 s82, s82, 0xffffff                               // 000000009C1C: 8652FF52 00FFFFFF
	s_mul_i32 s82, s82, s71                                    // 000000009C24: 92524752
	s_mul_i32 s61, s60, s61                                    // 000000009C28: 923D3D3C
	s_add_u32 s82, s82, s61                                    // 000000009C2C: 80523D52
	v_mul_lo_u32 v6, v5, s82                                   // 000000009C30: D2850006 0000A505
	v_readlane_b32 s82, v3, 7                                  // 000000009C38: D2890052 00010F03
	s_lshr_b32 s61, s82, 24                                    // 000000009C40: 8F3D9852
	s_and_b32 s82, s82, 0xffffff                               // 000000009C44: 8652FF52 00FFFFFF
	s_mul_i32 s82, s82, s71                                    // 000000009C4C: 92524752
	s_mul_i32 s61, s60, s61                                    // 000000009C50: 923D3D3C
	s_add_u32 s82, s82, s61                                    // 000000009C54: 80523D52
	v_mul_lo_u32 v7, v4, s82                                   // 000000009C58: D2850007 0000A504
	v_add_u32_e32 v49, v6, v7                                  // 000000009C60: 68620F06
	v_readlane_b32 s82, v3, 8                                  // 000000009C64: D2890052 00011103
	s_lshr_b32 s61, s82, 24                                    // 000000009C6C: 8F3D9852
	s_and_b32 s82, s82, 0xffffff                               // 000000009C70: 8652FF52 00FFFFFF
	s_mul_i32 s82, s82, s71                                    // 000000009C78: 92524752
	s_mul_i32 s61, s60, s61                                    // 000000009C7C: 923D3D3C
	s_add_u32 s82, s82, s61                                    // 000000009C80: 80523D52
	v_mul_lo_u32 v6, v5, s82                                   // 000000009C84: D2850006 0000A505
	v_readlane_b32 s82, v3, 9                                  // 000000009C8C: D2890052 00011303
	s_lshr_b32 s61, s82, 24                                    // 000000009C94: 8F3D9852
	s_and_b32 s82, s82, 0xffffff                               // 000000009C98: 8652FF52 00FFFFFF
	s_mul_i32 s82, s82, s71                                    // 000000009CA0: 92524752
	s_mul_i32 s61, s60, s61                                    // 000000009CA4: 923D3D3C
	s_add_u32 s82, s82, s61                                    // 000000009CA8: 80523D52
	v_mul_lo_u32 v7, v4, s82                                   // 000000009CAC: D2850007 0000A504
	v_add_u32_e32 v50, v6, v7                                  // 000000009CB4: 68640F06
	v_readlane_b32 s82, v3, 10                                 // 000000009CB8: D2890052 00011503
	s_lshr_b32 s61, s82, 24                                    // 000000009CC0: 8F3D9852
	s_and_b32 s82, s82, 0xffffff                               // 000000009CC4: 8652FF52 00FFFFFF
	s_mul_i32 s82, s82, s71                                    // 000000009CCC: 92524752
	s_mul_i32 s61, s60, s61                                    // 000000009CD0: 923D3D3C
	s_add_u32 s82, s82, s61                                    // 000000009CD4: 80523D52
	v_mul_lo_u32 v6, v5, s82                                   // 000000009CD8: D2850006 0000A505
	v_readlane_b32 s82, v3, 11                                 // 000000009CE0: D2890052 00011703
	s_lshr_b32 s61, s82, 24                                    // 000000009CE8: 8F3D9852
	s_and_b32 s82, s82, 0xffffff                               // 000000009CEC: 8652FF52 00FFFFFF
	s_mul_i32 s82, s82, s71                                    // 000000009CF4: 92524752
	s_mul_i32 s61, s60, s61                                    // 000000009CF8: 923D3D3C
	s_add_u32 s82, s82, s61                                    // 000000009CFC: 80523D52
	v_mul_lo_u32 v7, v4, s82                                   // 000000009D00: D2850007 0000A504
	v_add_u32_e32 v51, v6, v7                                  // 000000009D08: 68660F06
	v_readlane_b32 s82, v3, 12                                 // 000000009D0C: D2890052 00011903
	s_lshr_b32 s61, s82, 24                                    // 000000009D14: 8F3D9852
	s_and_b32 s82, s82, 0xffffff                               // 000000009D18: 8652FF52 00FFFFFF
	s_mul_i32 s82, s82, s71                                    // 000000009D20: 92524752
	s_mul_i32 s61, s60, s61                                    // 000000009D24: 923D3D3C
	s_add_u32 s82, s82, s61                                    // 000000009D28: 80523D52
	v_mul_lo_u32 v6, v5, s82                                   // 000000009D2C: D2850006 0000A505
	v_readlane_b32 s82, v3, 13                                 // 000000009D34: D2890052 00011B03
	s_lshr_b32 s61, s82, 24                                    // 000000009D3C: 8F3D9852
	s_and_b32 s82, s82, 0xffffff                               // 000000009D40: 8652FF52 00FFFFFF
	s_mul_i32 s82, s82, s71                                    // 000000009D48: 92524752
	s_mul_i32 s61, s60, s61                                    // 000000009D4C: 923D3D3C
	s_add_u32 s82, s82, s61                                    // 000000009D50: 80523D52
	v_mul_lo_u32 v7, v4, s82                                   // 000000009D54: D2850007 0000A504
	v_add_u32_e32 v52, v6, v7                                  // 000000009D5C: 68680F06
	v_readlane_b32 s82, v3, 14                                 // 000000009D60: D2890052 00011D03
	s_lshr_b32 s61, s82, 24                                    // 000000009D68: 8F3D9852
	s_and_b32 s82, s82, 0xffffff                               // 000000009D6C: 8652FF52 00FFFFFF
	s_mul_i32 s82, s82, s71                                    // 000000009D74: 92524752
	s_mul_i32 s61, s60, s61                                    // 000000009D78: 923D3D3C
	s_add_u32 s82, s82, s61                                    // 000000009D7C: 80523D52
	v_mul_lo_u32 v6, v5, s82                                   // 000000009D80: D2850006 0000A505
	v_readlane_b32 s82, v3, 15                                 // 000000009D88: D2890052 00011F03
	s_lshr_b32 s61, s82, 24                                    // 000000009D90: 8F3D9852
	s_and_b32 s82, s82, 0xffffff                               // 000000009D94: 8652FF52 00FFFFFF
	s_mul_i32 s82, s82, s71                                    // 000000009D9C: 92524752
	s_mul_i32 s61, s60, s61                                    // 000000009DA0: 923D3D3C
	s_add_u32 s82, s82, s61                                    // 000000009DA4: 80523D52
	v_mul_lo_u32 v7, v4, s82                                   // 000000009DA8: D2850007 0000A504
	v_add_u32_e32 v53, v6, v7                                  // 000000009DB0: 686A0F06
	v_and_b32_e32 v4, 31, v0                                   // 000000009DB4: 2608009F
	v_lshrrev_b32_e32 v4, 1, v4                                // 000000009DB8: 20080881
	s_cmp_eq_u32 s88, 0                                        // 000000009DBC: BF068058
	s_cselect_b32 s61, 2, 4                                    // 000000009DC0: 853D8482
	v_mul_lo_u32 v4, v4, s61                                   // 000000009DC4: D2850004 00007B04
	v_and_b32_e64 v5, v0, 1                                    // 000000009DCC: D1130005 00010300
	v_add_u32_e32 v4, v4, v5                                   // 000000009DD4: 68080B04
	v_lshlrev_b32_e32 v4, 2, v4                                // 000000009DD8: 24080882
	v_add_u32_e32 v46, v46, v4                                 // 000000009DDC: 685C092E
	v_add_u32_e32 v47, v47, v4                                 // 000000009DE0: 685E092F
	v_add_u32_e32 v48, v48, v4                                 // 000000009DE4: 68600930
	v_add_u32_e32 v49, v49, v4                                 // 000000009DE8: 68620931
	v_add_u32_e32 v50, v50, v4                                 // 000000009DEC: 68640932
	v_add_u32_e32 v51, v51, v4                                 // 000000009DF0: 68660933
	v_add_u32_e32 v52, v52, v4                                 // 000000009DF4: 68680934
	v_add_u32_e32 v53, v53, v4                                 // 000000009DF8: 686A0935
	s_waitcnt lgkmcnt(0)                                       // 000000009DFC: BF8CC07F
	s_barrier                                                  // 000000009E00: BF8A0000
	ds_read_b32 v56, v21                                       // 000000009E04: D86C0000 38000015
	ds_read_b32 v57, v21 offset:64                             // 000000009E0C: D86C0040 39000015
	ds_read_b32 v60, v21 offset:2176                           // 000000009E14: D86C0880 3C000015
	ds_read_b32 v61, v21 offset:2240                           // 000000009E1C: D86C08C0 3D000015
	ds_read_b32 v64, v21 offset:4352                           // 000000009E24: D86C1100 40000015
	ds_read_b32 v65, v21 offset:4416                           // 000000009E2C: D86C1140 41000015
	ds_read_b32 v68, v21 offset:6528                           // 000000009E34: D86C1980 44000015
	ds_read_b32 v69, v21 offset:6592                           // 000000009E3C: D86C19C0 45000015
	ds_read_b32 v72, v21 offset:8704                           // 000000009E44: D86C2200 48000015
	ds_read_b32 v73, v21 offset:8768                           // 000000009E4C: D86C2240 49000015
	ds_read_b32 v76, v21 offset:10880                          // 000000009E54: D86C2A80 4C000015
	ds_read_b32 v77, v21 offset:10944                          // 000000009E5C: D86C2AC0 4D000015
	ds_read_b32 v80, v21 offset:13056                          // 000000009E64: D86C3300 50000015
	ds_read_b32 v81, v21 offset:13120                          // 000000009E6C: D86C3340 51000015
	ds_read_b32 v84, v21 offset:15232                          // 000000009E74: D86C3B80 54000015
	ds_read_b32 v85, v21 offset:15296                          // 000000009E7C: D86C3BC0 55000015
	s_waitcnt lgkmcnt(0)                                       // 000000009E84: BF8CC07F
	s_mov_b32 s36, -1                                          // 000000009E88: BEA400C1
	s_mov_b32 s37, -1                                          // 000000009E8C: BEA500C1
	v_mov_b32_e32 v7, 0                                        // 000000009E90: 7E0E0280
	s_mov_b64 exec, s[36:37]                                   // 000000009E94: BEFE0124
	v_mov_b32_e32 v6, v46                                      // 000000009E98: 7E0C032E
	s_mov_b64 s[60:61], 0                                      // 000000009E9C: BEBC0180
	v_readlane_b32 s82, v3, 0                                  // 000000009EA0: D2890052 00010103
	s_and_b32 s82, s82, 0xffffff                               // 000000009EA8: 8652FF52 00FFFFFF
	s_cmp_lt_u32 s82, s66                                      // 000000009EB0: BF0A4252
	s_cselect_b32 s20, s36, s60                                // 000000009EB4: 85143C24
	v_readlane_b32 s82, v3, 1                                  // 000000009EB8: D2890052 00010303
	s_and_b32 s82, s82, 0xffffff                               // 000000009EC0: 8652FF52 00FFFFFF
	s_cmp_lt_u32 s82, s66                                      // 000000009EC8: BF0A4252
	s_cselect_b32 s21, s36, s60                                // 000000009ECC: 85153C24
	s_mov_b64 exec, s[20:21]                                   // 000000009ED0: BEFE0114
	global_atomic_add_f32 v6, v56, s[8:9]                      // 000000009ED4: DD348000 00083806
	global_atomic_add_f32 v6, v60, s[8:9] offset:256           // 000000009EDC: DD348100 00083C06
	s_mov_b64 exec, s[36:37]                                   // 000000009EE4: BEFE0124
	v_mov_b32_e32 v6, v47                                      // 000000009EE8: 7E0C032F
	s_mov_b64 s[60:61], 0                                      // 000000009EEC: BEBC0180
	v_readlane_b32 s82, v3, 2                                  // 000000009EF0: D2890052 00010503
	s_and_b32 s82, s82, 0xffffff                               // 000000009EF8: 8652FF52 00FFFFFF
	s_cmp_lt_u32 s82, s66                                      // 000000009F00: BF0A4252
	s_cselect_b32 s20, s36, s60                                // 000000009F04: 85143C24
	v_readlane_b32 s82, v3, 3                                  // 000000009F08: D2890052 00010703
	s_and_b32 s82, s82, 0xffffff                               // 000000009F10: 8652FF52 00FFFFFF
	s_cmp_lt_u32 s82, s66                                      // 000000009F18: BF0A4252
	s_cselect_b32 s21, s36, s60                                // 000000009F1C: 85153C24
	s_mov_b64 exec, s[20:21]                                   // 000000009F20: BEFE0114
	global_atomic_add_f32 v6, v57, s[8:9]                      // 000000009F24: DD348000 00083906
	global_atomic_add_f32 v6, v61, s[8:9] offset:256           // 000000009F2C: DD348100 00083D06
	s_mov_b64 exec, s[36:37]                                   // 000000009F34: BEFE0124
	v_mov_b32_e32 v6, v48                                      // 000000009F38: 7E0C0330
	s_mov_b64 s[60:61], 0                                      // 000000009F3C: BEBC0180
	v_readlane_b32 s82, v3, 4                                  // 000000009F40: D2890052 00010903
	s_and_b32 s82, s82, 0xffffff                               // 000000009F48: 8652FF52 00FFFFFF
	s_cmp_lt_u32 s82, s66                                      // 000000009F50: BF0A4252
	s_cselect_b32 s20, s36, s60                                // 000000009F54: 85143C24
	v_readlane_b32 s82, v3, 5                                  // 000000009F58: D2890052 00010B03
	s_and_b32 s82, s82, 0xffffff                               // 000000009F60: 8652FF52 00FFFFFF
	s_cmp_lt_u32 s82, s66                                      // 000000009F68: BF0A4252
	s_cselect_b32 s21, s36, s60                                // 000000009F6C: 85153C24
	s_mov_b64 exec, s[20:21]                                   // 000000009F70: BEFE0114
	global_atomic_add_f32 v6, v64, s[8:9]                      // 000000009F74: DD348000 00084006
	global_atomic_add_f32 v6, v68, s[8:9] offset:256           // 000000009F7C: DD348100 00084406
	s_mov_b64 exec, s[36:37]                                   // 000000009F84: BEFE0124
	v_mov_b32_e32 v6, v49                                      // 000000009F88: 7E0C0331
	s_mov_b64 s[60:61], 0                                      // 000000009F8C: BEBC0180
	v_readlane_b32 s82, v3, 6                                  // 000000009F90: D2890052 00010D03
	s_and_b32 s82, s82, 0xffffff                               // 000000009F98: 8652FF52 00FFFFFF
	s_cmp_lt_u32 s82, s66                                      // 000000009FA0: BF0A4252
	s_cselect_b32 s20, s36, s60                                // 000000009FA4: 85143C24
	v_readlane_b32 s82, v3, 7                                  // 000000009FA8: D2890052 00010F03
	s_and_b32 s82, s82, 0xffffff                               // 000000009FB0: 8652FF52 00FFFFFF
	s_cmp_lt_u32 s82, s66                                      // 000000009FB8: BF0A4252
	s_cselect_b32 s21, s36, s60                                // 000000009FBC: 85153C24
	s_mov_b64 exec, s[20:21]                                   // 000000009FC0: BEFE0114
	global_atomic_add_f32 v6, v65, s[8:9]                      // 000000009FC4: DD348000 00084106
	global_atomic_add_f32 v6, v69, s[8:9] offset:256           // 000000009FCC: DD348100 00084506
	s_mov_b64 exec, s[36:37]                                   // 000000009FD4: BEFE0124
	v_mov_b32_e32 v6, v50                                      // 000000009FD8: 7E0C0332
	s_mov_b64 s[60:61], 0                                      // 000000009FDC: BEBC0180
	v_readlane_b32 s82, v3, 8                                  // 000000009FE0: D2890052 00011103
	s_and_b32 s82, s82, 0xffffff                               // 000000009FE8: 8652FF52 00FFFFFF
	s_cmp_lt_u32 s82, s66                                      // 000000009FF0: BF0A4252
	s_cselect_b32 s20, s36, s60                                // 000000009FF4: 85143C24
	v_readlane_b32 s82, v3, 9                                  // 000000009FF8: D2890052 00011303
	s_and_b32 s82, s82, 0xffffff                               // 00000000A000: 8652FF52 00FFFFFF
	s_cmp_lt_u32 s82, s66                                      // 00000000A008: BF0A4252
	s_cselect_b32 s21, s36, s60                                // 00000000A00C: 85153C24
	s_mov_b64 exec, s[20:21]                                   // 00000000A010: BEFE0114
	global_atomic_add_f32 v6, v72, s[8:9]                      // 00000000A014: DD348000 00084806
	global_atomic_add_f32 v6, v76, s[8:9] offset:256           // 00000000A01C: DD348100 00084C06
	s_mov_b64 exec, s[36:37]                                   // 00000000A024: BEFE0124
	v_mov_b32_e32 v6, v51                                      // 00000000A028: 7E0C0333
	s_mov_b64 s[60:61], 0                                      // 00000000A02C: BEBC0180
	v_readlane_b32 s82, v3, 10                                 // 00000000A030: D2890052 00011503
	s_and_b32 s82, s82, 0xffffff                               // 00000000A038: 8652FF52 00FFFFFF
	s_cmp_lt_u32 s82, s66                                      // 00000000A040: BF0A4252
	s_cselect_b32 s20, s36, s60                                // 00000000A044: 85143C24
	v_readlane_b32 s82, v3, 11                                 // 00000000A048: D2890052 00011703
	s_and_b32 s82, s82, 0xffffff                               // 00000000A050: 8652FF52 00FFFFFF
	s_cmp_lt_u32 s82, s66                                      // 00000000A058: BF0A4252
	s_cselect_b32 s21, s36, s60                                // 00000000A05C: 85153C24
	s_mov_b64 exec, s[20:21]                                   // 00000000A060: BEFE0114
	global_atomic_add_f32 v6, v73, s[8:9]                      // 00000000A064: DD348000 00084906
	global_atomic_add_f32 v6, v77, s[8:9] offset:256           // 00000000A06C: DD348100 00084D06
	s_mov_b64 exec, s[36:37]                                   // 00000000A074: BEFE0124
	v_mov_b32_e32 v6, v52                                      // 00000000A078: 7E0C0334
	s_mov_b64 s[60:61], 0                                      // 00000000A07C: BEBC0180
	v_readlane_b32 s82, v3, 12                                 // 00000000A080: D2890052 00011903
	s_and_b32 s82, s82, 0xffffff                               // 00000000A088: 8652FF52 00FFFFFF
	s_cmp_lt_u32 s82, s66                                      // 00000000A090: BF0A4252
	s_cselect_b32 s20, s36, s60                                // 00000000A094: 85143C24
	v_readlane_b32 s82, v3, 13                                 // 00000000A098: D2890052 00011B03
	s_and_b32 s82, s82, 0xffffff                               // 00000000A0A0: 8652FF52 00FFFFFF
	s_cmp_lt_u32 s82, s66                                      // 00000000A0A8: BF0A4252
	s_cselect_b32 s21, s36, s60                                // 00000000A0AC: 85153C24
	s_mov_b64 exec, s[20:21]                                   // 00000000A0B0: BEFE0114
	global_atomic_add_f32 v6, v80, s[8:9]                      // 00000000A0B4: DD348000 00085006
	global_atomic_add_f32 v6, v84, s[8:9] offset:256           // 00000000A0BC: DD348100 00085406
	s_mov_b64 exec, s[36:37]                                   // 00000000A0C4: BEFE0124
	v_mov_b32_e32 v6, v53                                      // 00000000A0C8: 7E0C0335
	s_mov_b64 s[60:61], 0                                      // 00000000A0CC: BEBC0180
	v_readlane_b32 s82, v3, 14                                 // 00000000A0D0: D2890052 00011D03
	s_and_b32 s82, s82, 0xffffff                               // 00000000A0D8: 8652FF52 00FFFFFF
	s_cmp_lt_u32 s82, s66                                      // 00000000A0E0: BF0A4252
	s_cselect_b32 s20, s36, s60                                // 00000000A0E4: 85143C24
	v_readlane_b32 s82, v3, 15                                 // 00000000A0E8: D2890052 00011F03
	s_and_b32 s82, s82, 0xffffff                               // 00000000A0F0: 8652FF52 00FFFFFF
	s_cmp_lt_u32 s82, s66                                      // 00000000A0F8: BF0A4252
	s_cselect_b32 s21, s36, s60                                // 00000000A0FC: 85153C24
	s_mov_b64 exec, s[20:21]                                   // 00000000A100: BEFE0114
	global_atomic_add_f32 v6, v81, s[8:9]                      // 00000000A104: DD348000 00085106
	global_atomic_add_f32 v6, v85, s[8:9] offset:256           // 00000000A10C: DD348100 00085506
	s_mov_b64 exec, s[36:37]                                   // 00000000A114: BEFE0124
	ds_write_b64 v20, v[58:59]                                 // 00000000A118: D89A0000 00003A14
	ds_write_b64 v20, v[62:63] offset:4352                     // 00000000A120: D89A1100 00003E14
	ds_write_b64 v20, v[66:67] offset:8704                     // 00000000A128: D89A2200 00004214
	ds_write_b64 v20, v[70:71] offset:13056                    // 00000000A130: D89A3300 00004614
	ds_write_b64 v20, v[74:75] offset:2176                     // 00000000A138: D89A0880 00004A14
	ds_write_b64 v20, v[78:79] offset:6528                     // 00000000A140: D89A1980 00004E14
	ds_write_b64 v20, v[82:83] offset:10880                    // 00000000A148: D89A2A80 00005214
	ds_write_b64 v20, v[86:87] offset:15232                    // 00000000A150: D89A3B80 00005614
	s_waitcnt lgkmcnt(0)                                       // 00000000A158: BF8CC07F
	s_barrier                                                  // 00000000A15C: BF8A0000
	ds_read_b32 v58, v21                                       // 00000000A160: D86C0000 3A000015
	ds_read_b32 v59, v21 offset:64                             // 00000000A168: D86C0040 3B000015
	ds_read_b32 v62, v21 offset:2176                           // 00000000A170: D86C0880 3E000015
	ds_read_b32 v63, v21 offset:2240                           // 00000000A178: D86C08C0 3F000015
	ds_read_b32 v66, v21 offset:4352                           // 00000000A180: D86C1100 42000015
	ds_read_b32 v67, v21 offset:4416                           // 00000000A188: D86C1140 43000015
	ds_read_b32 v70, v21 offset:6528                           // 00000000A190: D86C1980 46000015
	ds_read_b32 v71, v21 offset:6592                           // 00000000A198: D86C19C0 47000015
	ds_read_b32 v74, v21 offset:8704                           // 00000000A1A0: D86C2200 4A000015
	ds_read_b32 v75, v21 offset:8768                           // 00000000A1A8: D86C2240 4B000015
	ds_read_b32 v78, v21 offset:10880                          // 00000000A1B0: D86C2A80 4E000015
	ds_read_b32 v79, v21 offset:10944                          // 00000000A1B8: D86C2AC0 4F000015
	ds_read_b32 v82, v21 offset:13056                          // 00000000A1C0: D86C3300 52000015
	ds_read_b32 v83, v21 offset:13120                          // 00000000A1C8: D86C3340 53000015
	ds_read_b32 v86, v21 offset:15232                          // 00000000A1D0: D86C3B80 56000015
	ds_read_b32 v87, v21 offset:15296                          // 00000000A1D8: D86C3BC0 57000015
	s_waitcnt lgkmcnt(0)                                       // 00000000A1E0: BF8CC07F
	v_mov_b32_e32 v7, 0                                        // 00000000A1E4: 7E0E0280
	s_mov_b64 exec, s[36:37]                                   // 00000000A1E8: BEFE0124
	v_mov_b32_e32 v6, v46                                      // 00000000A1EC: 7E0C032E
	s_mov_b64 s[60:61], 0                                      // 00000000A1F0: BEBC0180
	v_readlane_b32 s82, v3, 0                                  // 00000000A1F4: D2890052 00010103
	s_and_b32 s82, s82, 0xffffff                               // 00000000A1FC: 8652FF52 00FFFFFF
	s_cmp_lt_u32 s82, s66                                      // 00000000A204: BF0A4252
	s_cselect_b32 s20, s36, s60                                // 00000000A208: 85143C24
	v_readlane_b32 s82, v3, 1                                  // 00000000A20C: D2890052 00010303
	s_and_b32 s82, s82, 0xffffff                               // 00000000A214: 8652FF52 00FFFFFF
	s_cmp_lt_u32 s82, s66                                      // 00000000A21C: BF0A4252
	s_cselect_b32 s21, s36, s60                                // 00000000A220: 85153C24
	s_mov_b64 exec, s[20:21]                                   // 00000000A224: BEFE0114
	global_atomic_add_f32 v6, v58, s[8:9] offset:8             // 00000000A228: DD348008 00083A06
	global_atomic_add_f32 v6, v62, s[8:9] offset:264           // 00000000A230: DD348108 00083E06
	s_mov_b64 exec, s[36:37]                                   // 00000000A238: BEFE0124
	v_mov_b32_e32 v6, v47                                      // 00000000A23C: 7E0C032F
	s_mov_b64 s[60:61], 0                                      // 00000000A240: BEBC0180
	v_readlane_b32 s82, v3, 2                                  // 00000000A244: D2890052 00010503
	s_and_b32 s82, s82, 0xffffff                               // 00000000A24C: 8652FF52 00FFFFFF
	s_cmp_lt_u32 s82, s66                                      // 00000000A254: BF0A4252
	s_cselect_b32 s20, s36, s60                                // 00000000A258: 85143C24
	v_readlane_b32 s82, v3, 3                                  // 00000000A25C: D2890052 00010703
	s_and_b32 s82, s82, 0xffffff                               // 00000000A264: 8652FF52 00FFFFFF
	s_cmp_lt_u32 s82, s66                                      // 00000000A26C: BF0A4252
	s_cselect_b32 s21, s36, s60                                // 00000000A270: 85153C24
	s_mov_b64 exec, s[20:21]                                   // 00000000A274: BEFE0114
	global_atomic_add_f32 v6, v59, s[8:9] offset:8             // 00000000A278: DD348008 00083B06
	global_atomic_add_f32 v6, v63, s[8:9] offset:264           // 00000000A280: DD348108 00083F06
	s_mov_b64 exec, s[36:37]                                   // 00000000A288: BEFE0124
	v_mov_b32_e32 v6, v48                                      // 00000000A28C: 7E0C0330
	s_mov_b64 s[60:61], 0                                      // 00000000A290: BEBC0180
	v_readlane_b32 s82, v3, 4                                  // 00000000A294: D2890052 00010903
	s_and_b32 s82, s82, 0xffffff                               // 00000000A29C: 8652FF52 00FFFFFF
	s_cmp_lt_u32 s82, s66                                      // 00000000A2A4: BF0A4252
	s_cselect_b32 s20, s36, s60                                // 00000000A2A8: 85143C24
	v_readlane_b32 s82, v3, 5                                  // 00000000A2AC: D2890052 00010B03
	s_and_b32 s82, s82, 0xffffff                               // 00000000A2B4: 8652FF52 00FFFFFF
	s_cmp_lt_u32 s82, s66                                      // 00000000A2BC: BF0A4252
	s_cselect_b32 s21, s36, s60                                // 00000000A2C0: 85153C24
	s_mov_b64 exec, s[20:21]                                   // 00000000A2C4: BEFE0114
	global_atomic_add_f32 v6, v66, s[8:9] offset:8             // 00000000A2C8: DD348008 00084206
	global_atomic_add_f32 v6, v70, s[8:9] offset:264           // 00000000A2D0: DD348108 00084606
	s_mov_b64 exec, s[36:37]                                   // 00000000A2D8: BEFE0124
	v_mov_b32_e32 v6, v49                                      // 00000000A2DC: 7E0C0331
	s_mov_b64 s[60:61], 0                                      // 00000000A2E0: BEBC0180
	v_readlane_b32 s82, v3, 6                                  // 00000000A2E4: D2890052 00010D03
	s_and_b32 s82, s82, 0xffffff                               // 00000000A2EC: 8652FF52 00FFFFFF
	s_cmp_lt_u32 s82, s66                                      // 00000000A2F4: BF0A4252
	s_cselect_b32 s20, s36, s60                                // 00000000A2F8: 85143C24
	v_readlane_b32 s82, v3, 7                                  // 00000000A2FC: D2890052 00010F03
	s_and_b32 s82, s82, 0xffffff                               // 00000000A304: 8652FF52 00FFFFFF
	s_cmp_lt_u32 s82, s66                                      // 00000000A30C: BF0A4252
	s_cselect_b32 s21, s36, s60                                // 00000000A310: 85153C24
	s_mov_b64 exec, s[20:21]                                   // 00000000A314: BEFE0114
	global_atomic_add_f32 v6, v67, s[8:9] offset:8             // 00000000A318: DD348008 00084306
	global_atomic_add_f32 v6, v71, s[8:9] offset:264           // 00000000A320: DD348108 00084706
	s_mov_b64 exec, s[36:37]                                   // 00000000A328: BEFE0124
	v_mov_b32_e32 v6, v50                                      // 00000000A32C: 7E0C0332
	s_mov_b64 s[60:61], 0                                      // 00000000A330: BEBC0180
	v_readlane_b32 s82, v3, 8                                  // 00000000A334: D2890052 00011103
	s_and_b32 s82, s82, 0xffffff                               // 00000000A33C: 8652FF52 00FFFFFF
	s_cmp_lt_u32 s82, s66                                      // 00000000A344: BF0A4252
	s_cselect_b32 s20, s36, s60                                // 00000000A348: 85143C24
	v_readlane_b32 s82, v3, 9                                  // 00000000A34C: D2890052 00011303
	s_and_b32 s82, s82, 0xffffff                               // 00000000A354: 8652FF52 00FFFFFF
	s_cmp_lt_u32 s82, s66                                      // 00000000A35C: BF0A4252
	s_cselect_b32 s21, s36, s60                                // 00000000A360: 85153C24
	s_mov_b64 exec, s[20:21]                                   // 00000000A364: BEFE0114
	global_atomic_add_f32 v6, v74, s[8:9] offset:8             // 00000000A368: DD348008 00084A06
	global_atomic_add_f32 v6, v78, s[8:9] offset:264           // 00000000A370: DD348108 00084E06
	s_mov_b64 exec, s[36:37]                                   // 00000000A378: BEFE0124
	v_mov_b32_e32 v6, v51                                      // 00000000A37C: 7E0C0333
	s_mov_b64 s[60:61], 0                                      // 00000000A380: BEBC0180
	v_readlane_b32 s82, v3, 10                                 // 00000000A384: D2890052 00011503
	s_and_b32 s82, s82, 0xffffff                               // 00000000A38C: 8652FF52 00FFFFFF
	s_cmp_lt_u32 s82, s66                                      // 00000000A394: BF0A4252
	s_cselect_b32 s20, s36, s60                                // 00000000A398: 85143C24
	v_readlane_b32 s82, v3, 11                                 // 00000000A39C: D2890052 00011703
	s_and_b32 s82, s82, 0xffffff                               // 00000000A3A4: 8652FF52 00FFFFFF
	s_cmp_lt_u32 s82, s66                                      // 00000000A3AC: BF0A4252
	s_cselect_b32 s21, s36, s60                                // 00000000A3B0: 85153C24
	s_mov_b64 exec, s[20:21]                                   // 00000000A3B4: BEFE0114
	global_atomic_add_f32 v6, v75, s[8:9] offset:8             // 00000000A3B8: DD348008 00084B06
	global_atomic_add_f32 v6, v79, s[8:9] offset:264           // 00000000A3C0: DD348108 00084F06
	s_mov_b64 exec, s[36:37]                                   // 00000000A3C8: BEFE0124
	v_mov_b32_e32 v6, v52                                      // 00000000A3CC: 7E0C0334
	s_mov_b64 s[60:61], 0                                      // 00000000A3D0: BEBC0180
	v_readlane_b32 s82, v3, 12                                 // 00000000A3D4: D2890052 00011903
	s_and_b32 s82, s82, 0xffffff                               // 00000000A3DC: 8652FF52 00FFFFFF
	s_cmp_lt_u32 s82, s66                                      // 00000000A3E4: BF0A4252
	s_cselect_b32 s20, s36, s60                                // 00000000A3E8: 85143C24
	v_readlane_b32 s82, v3, 13                                 // 00000000A3EC: D2890052 00011B03
	s_and_b32 s82, s82, 0xffffff                               // 00000000A3F4: 8652FF52 00FFFFFF
	s_cmp_lt_u32 s82, s66                                      // 00000000A3FC: BF0A4252
	s_cselect_b32 s21, s36, s60                                // 00000000A400: 85153C24
	s_mov_b64 exec, s[20:21]                                   // 00000000A404: BEFE0114
	global_atomic_add_f32 v6, v82, s[8:9] offset:8             // 00000000A408: DD348008 00085206
	global_atomic_add_f32 v6, v86, s[8:9] offset:264           // 00000000A410: DD348108 00085606
	s_mov_b64 exec, s[36:37]                                   // 00000000A418: BEFE0124
	v_mov_b32_e32 v6, v53                                      // 00000000A41C: 7E0C0335
	s_mov_b64 s[60:61], 0                                      // 00000000A420: BEBC0180
	v_readlane_b32 s82, v3, 14                                 // 00000000A424: D2890052 00011D03
	s_and_b32 s82, s82, 0xffffff                               // 00000000A42C: 8652FF52 00FFFFFF
	s_cmp_lt_u32 s82, s66                                      // 00000000A434: BF0A4252
	s_cselect_b32 s20, s36, s60                                // 00000000A438: 85143C24
	v_readlane_b32 s82, v3, 15                                 // 00000000A43C: D2890052 00011F03
	s_and_b32 s82, s82, 0xffffff                               // 00000000A444: 8652FF52 00FFFFFF
	s_cmp_lt_u32 s82, s66                                      // 00000000A44C: BF0A4252
	s_cselect_b32 s21, s36, s60                                // 00000000A450: 85153C24
	s_mov_b64 exec, s[20:21]                                   // 00000000A454: BEFE0114
	global_atomic_add_f32 v6, v83, s[8:9] offset:8             // 00000000A458: DD348008 00085306
	global_atomic_add_f32 v6, v87, s[8:9] offset:264           // 00000000A460: DD348108 00085706
	s_mov_b64 exec, s[36:37]                                   // 00000000A468: BEFE0124
	ds_write_b64 v20, v[88:89]                                 // 00000000A46C: D89A0000 00005814
	ds_write_b64 v20, v[92:93] offset:4352                     // 00000000A474: D89A1100 00005C14
	ds_write_b64 v20, v[96:97] offset:8704                     // 00000000A47C: D89A2200 00006014
	ds_write_b64 v20, v[100:101] offset:13056                  // 00000000A484: D89A3300 00006414
	ds_write_b64 v20, v[104:105] offset:2176                   // 00000000A48C: D89A0880 00006814
	ds_write_b64 v20, v[108:109] offset:6528                   // 00000000A494: D89A1980 00006C14
	ds_write_b64 v20, v[112:113] offset:10880                  // 00000000A49C: D89A2A80 00007014
	ds_write_b64 v20, v[116:117] offset:15232                  // 00000000A4A4: D89A3B80 00007414
	s_waitcnt lgkmcnt(0)                                       // 00000000A4AC: BF8CC07F
	s_barrier                                                  // 00000000A4B0: BF8A0000
	ds_read_b32 v88, v21                                       // 00000000A4B4: D86C0000 58000015
	ds_read_b32 v89, v21 offset:64                             // 00000000A4BC: D86C0040 59000015
	ds_read_b32 v92, v21 offset:2176                           // 00000000A4C4: D86C0880 5C000015
	ds_read_b32 v93, v21 offset:2240                           // 00000000A4CC: D86C08C0 5D000015
	ds_read_b32 v96, v21 offset:4352                           // 00000000A4D4: D86C1100 60000015
	ds_read_b32 v97, v21 offset:4416                           // 00000000A4DC: D86C1140 61000015
	ds_read_b32 v100, v21 offset:6528                          // 00000000A4E4: D86C1980 64000015
	ds_read_b32 v101, v21 offset:6592                          // 00000000A4EC: D86C19C0 65000015
	ds_read_b32 v104, v21 offset:8704                          // 00000000A4F4: D86C2200 68000015
	ds_read_b32 v105, v21 offset:8768                          // 00000000A4FC: D86C2240 69000015
	ds_read_b32 v108, v21 offset:10880                         // 00000000A504: D86C2A80 6C000015
	ds_read_b32 v109, v21 offset:10944                         // 00000000A50C: D86C2AC0 6D000015
	ds_read_b32 v112, v21 offset:13056                         // 00000000A514: D86C3300 70000015
	ds_read_b32 v113, v21 offset:13120                         // 00000000A51C: D86C3340 71000015
	ds_read_b32 v116, v21 offset:15232                         // 00000000A524: D86C3B80 74000015
	ds_read_b32 v117, v21 offset:15296                         // 00000000A52C: D86C3BC0 75000015
	s_mul_i32 s60, s65, 4                                      // 00000000A534: 923C8441
	s_add_u32 s8, s60, s8                                      // 00000000A538: 8008083C
	s_addc_u32 s9, 0, s9                                       // 00000000A53C: 82090980
	s_waitcnt lgkmcnt(0)                                       // 00000000A540: BF8CC07F
	v_mov_b32_e32 v7, 0                                        // 00000000A544: 7E0E0280
	s_mov_b64 exec, s[36:37]                                   // 00000000A548: BEFE0124
	v_mov_b32_e32 v6, v46                                      // 00000000A54C: 7E0C032E
	s_mov_b64 s[60:61], 0                                      // 00000000A550: BEBC0180
	v_readlane_b32 s82, v3, 0                                  // 00000000A554: D2890052 00010103
	s_and_b32 s82, s82, 0xffffff                               // 00000000A55C: 8652FF52 00FFFFFF
	s_cmp_lt_u32 s82, s66                                      // 00000000A564: BF0A4252
	s_cselect_b32 s20, s36, s60                                // 00000000A568: 85143C24
	v_readlane_b32 s82, v3, 1                                  // 00000000A56C: D2890052 00010303
	s_and_b32 s82, s82, 0xffffff                               // 00000000A574: 8652FF52 00FFFFFF
	s_cmp_lt_u32 s82, s66                                      // 00000000A57C: BF0A4252
	s_cselect_b32 s21, s36, s60                                // 00000000A580: 85153C24
	s_mov_b64 exec, s[20:21]                                   // 00000000A584: BEFE0114
	global_atomic_add_f32 v6, v88, s[8:9]                      // 00000000A588: DD348000 00085806
	global_atomic_add_f32 v6, v92, s[8:9] offset:256           // 00000000A590: DD348100 00085C06
	s_mov_b64 exec, s[36:37]                                   // 00000000A598: BEFE0124
	v_mov_b32_e32 v6, v47                                      // 00000000A59C: 7E0C032F
	s_mov_b64 s[60:61], 0                                      // 00000000A5A0: BEBC0180
	v_readlane_b32 s82, v3, 2                                  // 00000000A5A4: D2890052 00010503
	s_and_b32 s82, s82, 0xffffff                               // 00000000A5AC: 8652FF52 00FFFFFF
	s_cmp_lt_u32 s82, s66                                      // 00000000A5B4: BF0A4252
	s_cselect_b32 s20, s36, s60                                // 00000000A5B8: 85143C24
	v_readlane_b32 s82, v3, 3                                  // 00000000A5BC: D2890052 00010703
	s_and_b32 s82, s82, 0xffffff                               // 00000000A5C4: 8652FF52 00FFFFFF
	s_cmp_lt_u32 s82, s66                                      // 00000000A5CC: BF0A4252
	s_cselect_b32 s21, s36, s60                                // 00000000A5D0: 85153C24
	s_mov_b64 exec, s[20:21]                                   // 00000000A5D4: BEFE0114
	global_atomic_add_f32 v6, v89, s[8:9]                      // 00000000A5D8: DD348000 00085906
	global_atomic_add_f32 v6, v93, s[8:9] offset:256           // 00000000A5E0: DD348100 00085D06
	s_mov_b64 exec, s[36:37]                                   // 00000000A5E8: BEFE0124
	v_mov_b32_e32 v6, v48                                      // 00000000A5EC: 7E0C0330
	s_mov_b64 s[60:61], 0                                      // 00000000A5F0: BEBC0180
	v_readlane_b32 s82, v3, 4                                  // 00000000A5F4: D2890052 00010903
	s_and_b32 s82, s82, 0xffffff                               // 00000000A5FC: 8652FF52 00FFFFFF
	s_cmp_lt_u32 s82, s66                                      // 00000000A604: BF0A4252
	s_cselect_b32 s20, s36, s60                                // 00000000A608: 85143C24
	v_readlane_b32 s82, v3, 5                                  // 00000000A60C: D2890052 00010B03
	s_and_b32 s82, s82, 0xffffff                               // 00000000A614: 8652FF52 00FFFFFF
	s_cmp_lt_u32 s82, s66                                      // 00000000A61C: BF0A4252
	s_cselect_b32 s21, s36, s60                                // 00000000A620: 85153C24
	s_mov_b64 exec, s[20:21]                                   // 00000000A624: BEFE0114
	global_atomic_add_f32 v6, v96, s[8:9]                      // 00000000A628: DD348000 00086006
	global_atomic_add_f32 v6, v100, s[8:9] offset:256          // 00000000A630: DD348100 00086406
	s_mov_b64 exec, s[36:37]                                   // 00000000A638: BEFE0124
	v_mov_b32_e32 v6, v49                                      // 00000000A63C: 7E0C0331
	s_mov_b64 s[60:61], 0                                      // 00000000A640: BEBC0180
	v_readlane_b32 s82, v3, 6                                  // 00000000A644: D2890052 00010D03
	s_and_b32 s82, s82, 0xffffff                               // 00000000A64C: 8652FF52 00FFFFFF
	s_cmp_lt_u32 s82, s66                                      // 00000000A654: BF0A4252
	s_cselect_b32 s20, s36, s60                                // 00000000A658: 85143C24
	v_readlane_b32 s82, v3, 7                                  // 00000000A65C: D2890052 00010F03
	s_and_b32 s82, s82, 0xffffff                               // 00000000A664: 8652FF52 00FFFFFF
	s_cmp_lt_u32 s82, s66                                      // 00000000A66C: BF0A4252
	s_cselect_b32 s21, s36, s60                                // 00000000A670: 85153C24
	s_mov_b64 exec, s[20:21]                                   // 00000000A674: BEFE0114
	global_atomic_add_f32 v6, v97, s[8:9]                      // 00000000A678: DD348000 00086106
	global_atomic_add_f32 v6, v101, s[8:9] offset:256          // 00000000A680: DD348100 00086506
	s_mov_b64 exec, s[36:37]                                   // 00000000A688: BEFE0124
	v_mov_b32_e32 v6, v50                                      // 00000000A68C: 7E0C0332
	s_mov_b64 s[60:61], 0                                      // 00000000A690: BEBC0180
	v_readlane_b32 s82, v3, 8                                  // 00000000A694: D2890052 00011103
	s_and_b32 s82, s82, 0xffffff                               // 00000000A69C: 8652FF52 00FFFFFF
	s_cmp_lt_u32 s82, s66                                      // 00000000A6A4: BF0A4252
	s_cselect_b32 s20, s36, s60                                // 00000000A6A8: 85143C24
	v_readlane_b32 s82, v3, 9                                  // 00000000A6AC: D2890052 00011303
	s_and_b32 s82, s82, 0xffffff                               // 00000000A6B4: 8652FF52 00FFFFFF
	s_cmp_lt_u32 s82, s66                                      // 00000000A6BC: BF0A4252
	s_cselect_b32 s21, s36, s60                                // 00000000A6C0: 85153C24
	s_mov_b64 exec, s[20:21]                                   // 00000000A6C4: BEFE0114
	global_atomic_add_f32 v6, v104, s[8:9]                     // 00000000A6C8: DD348000 00086806
	global_atomic_add_f32 v6, v108, s[8:9] offset:256          // 00000000A6D0: DD348100 00086C06
	s_mov_b64 exec, s[36:37]                                   // 00000000A6D8: BEFE0124
	v_mov_b32_e32 v6, v51                                      // 00000000A6DC: 7E0C0333
	s_mov_b64 s[60:61], 0                                      // 00000000A6E0: BEBC0180
	v_readlane_b32 s82, v3, 10                                 // 00000000A6E4: D2890052 00011503
	s_and_b32 s82, s82, 0xffffff                               // 00000000A6EC: 8652FF52 00FFFFFF
	s_cmp_lt_u32 s82, s66                                      // 00000000A6F4: BF0A4252
	s_cselect_b32 s20, s36, s60                                // 00000000A6F8: 85143C24
	v_readlane_b32 s82, v3, 11                                 // 00000000A6FC: D2890052 00011703
	s_and_b32 s82, s82, 0xffffff                               // 00000000A704: 8652FF52 00FFFFFF
	s_cmp_lt_u32 s82, s66                                      // 00000000A70C: BF0A4252
	s_cselect_b32 s21, s36, s60                                // 00000000A710: 85153C24
	s_mov_b64 exec, s[20:21]                                   // 00000000A714: BEFE0114
	global_atomic_add_f32 v6, v105, s[8:9]                     // 00000000A718: DD348000 00086906
	global_atomic_add_f32 v6, v109, s[8:9] offset:256          // 00000000A720: DD348100 00086D06
	s_mov_b64 exec, s[36:37]                                   // 00000000A728: BEFE0124
	v_mov_b32_e32 v6, v52                                      // 00000000A72C: 7E0C0334
	s_mov_b64 s[60:61], 0                                      // 00000000A730: BEBC0180
	v_readlane_b32 s82, v3, 12                                 // 00000000A734: D2890052 00011903
	s_and_b32 s82, s82, 0xffffff                               // 00000000A73C: 8652FF52 00FFFFFF
	s_cmp_lt_u32 s82, s66                                      // 00000000A744: BF0A4252
	s_cselect_b32 s20, s36, s60                                // 00000000A748: 85143C24
	v_readlane_b32 s82, v3, 13                                 // 00000000A74C: D2890052 00011B03
	s_and_b32 s82, s82, 0xffffff                               // 00000000A754: 8652FF52 00FFFFFF
	s_cmp_lt_u32 s82, s66                                      // 00000000A75C: BF0A4252
	s_cselect_b32 s21, s36, s60                                // 00000000A760: 85153C24
	s_mov_b64 exec, s[20:21]                                   // 00000000A764: BEFE0114
	global_atomic_add_f32 v6, v112, s[8:9]                     // 00000000A768: DD348000 00087006
	global_atomic_add_f32 v6, v116, s[8:9] offset:256          // 00000000A770: DD348100 00087406
	s_mov_b64 exec, s[36:37]                                   // 00000000A778: BEFE0124
	v_mov_b32_e32 v6, v53                                      // 00000000A77C: 7E0C0335
	s_mov_b64 s[60:61], 0                                      // 00000000A780: BEBC0180
	v_readlane_b32 s82, v3, 14                                 // 00000000A784: D2890052 00011D03
	s_and_b32 s82, s82, 0xffffff                               // 00000000A78C: 8652FF52 00FFFFFF
	s_cmp_lt_u32 s82, s66                                      // 00000000A794: BF0A4252
	s_cselect_b32 s20, s36, s60                                // 00000000A798: 85143C24
	v_readlane_b32 s82, v3, 15                                 // 00000000A79C: D2890052 00011F03
	s_and_b32 s82, s82, 0xffffff                               // 00000000A7A4: 8652FF52 00FFFFFF
	s_cmp_lt_u32 s82, s66                                      // 00000000A7AC: BF0A4252
	s_cselect_b32 s21, s36, s60                                // 00000000A7B0: 85153C24
	s_mov_b64 exec, s[20:21]                                   // 00000000A7B4: BEFE0114
	global_atomic_add_f32 v6, v113, s[8:9]                     // 00000000A7B8: DD348000 00087106
	global_atomic_add_f32 v6, v117, s[8:9] offset:256          // 00000000A7C0: DD348100 00087506
	s_mov_b64 exec, s[36:37]                                   // 00000000A7C8: BEFE0124
	ds_write_b64 v20, v[90:91]                                 // 00000000A7CC: D89A0000 00005A14
	ds_write_b64 v20, v[94:95] offset:4352                     // 00000000A7D4: D89A1100 00005E14
	ds_write_b64 v20, v[98:99] offset:8704                     // 00000000A7DC: D89A2200 00006214
	ds_write_b64 v20, v[102:103] offset:13056                  // 00000000A7E4: D89A3300 00006614
	ds_write_b64 v20, v[106:107] offset:2176                   // 00000000A7EC: D89A0880 00006A14
	ds_write_b64 v20, v[110:111] offset:6528                   // 00000000A7F4: D89A1980 00006E14
	ds_write_b64 v20, v[114:115] offset:10880                  // 00000000A7FC: D89A2A80 00007214
	ds_write_b64 v20, v[118:119] offset:15232                  // 00000000A804: D89A3B80 00007614
	s_waitcnt lgkmcnt(0)                                       // 00000000A80C: BF8CC07F
	s_barrier                                                  // 00000000A810: BF8A0000
	ds_read_b32 v90, v21                                       // 00000000A814: D86C0000 5A000015
	ds_read_b32 v91, v21 offset:64                             // 00000000A81C: D86C0040 5B000015
	ds_read_b32 v94, v21 offset:2176                           // 00000000A824: D86C0880 5E000015
	ds_read_b32 v95, v21 offset:2240                           // 00000000A82C: D86C08C0 5F000015
	ds_read_b32 v98, v21 offset:4352                           // 00000000A834: D86C1100 62000015
	ds_read_b32 v99, v21 offset:4416                           // 00000000A83C: D86C1140 63000015
	ds_read_b32 v102, v21 offset:6528                          // 00000000A844: D86C1980 66000015
	ds_read_b32 v103, v21 offset:6592                          // 00000000A84C: D86C19C0 67000015
	ds_read_b32 v106, v21 offset:8704                          // 00000000A854: D86C2200 6A000015
	ds_read_b32 v107, v21 offset:8768                          // 00000000A85C: D86C2240 6B000015
	ds_read_b32 v110, v21 offset:10880                         // 00000000A864: D86C2A80 6E000015
	ds_read_b32 v111, v21 offset:10944                         // 00000000A86C: D86C2AC0 6F000015
	ds_read_b32 v114, v21 offset:13056                         // 00000000A874: D86C3300 72000015
	ds_read_b32 v115, v21 offset:13120                         // 00000000A87C: D86C3340 73000015
	ds_read_b32 v118, v21 offset:15232                         // 00000000A884: D86C3B80 76000015
	ds_read_b32 v119, v21 offset:15296                         // 00000000A88C: D86C3BC0 77000015
	s_waitcnt lgkmcnt(0)                                       // 00000000A894: BF8CC07F
	v_mov_b32_e32 v7, 0                                        // 00000000A898: 7E0E0280
	s_mov_b64 exec, s[36:37]                                   // 00000000A89C: BEFE0124
	v_mov_b32_e32 v6, v46                                      // 00000000A8A0: 7E0C032E
	s_mov_b64 s[60:61], 0                                      // 00000000A8A4: BEBC0180
	v_readlane_b32 s82, v3, 0                                  // 00000000A8A8: D2890052 00010103
	s_and_b32 s82, s82, 0xffffff                               // 00000000A8B0: 8652FF52 00FFFFFF
	s_cmp_lt_u32 s82, s66                                      // 00000000A8B8: BF0A4252
	s_cselect_b32 s20, s36, s60                                // 00000000A8BC: 85143C24
	v_readlane_b32 s82, v3, 1                                  // 00000000A8C0: D2890052 00010303
	s_and_b32 s82, s82, 0xffffff                               // 00000000A8C8: 8652FF52 00FFFFFF
	s_cmp_lt_u32 s82, s66                                      // 00000000A8D0: BF0A4252
	s_cselect_b32 s21, s36, s60                                // 00000000A8D4: 85153C24
	s_mov_b64 exec, s[20:21]                                   // 00000000A8D8: BEFE0114
	global_atomic_add_f32 v6, v90, s[8:9] offset:8             // 00000000A8DC: DD348008 00085A06
	global_atomic_add_f32 v6, v94, s[8:9] offset:264           // 00000000A8E4: DD348108 00085E06
	s_mov_b64 exec, s[36:37]                                   // 00000000A8EC: BEFE0124
	v_mov_b32_e32 v6, v47                                      // 00000000A8F0: 7E0C032F
	s_mov_b64 s[60:61], 0                                      // 00000000A8F4: BEBC0180
	v_readlane_b32 s82, v3, 2                                  // 00000000A8F8: D2890052 00010503
	s_and_b32 s82, s82, 0xffffff                               // 00000000A900: 8652FF52 00FFFFFF
	s_cmp_lt_u32 s82, s66                                      // 00000000A908: BF0A4252
	s_cselect_b32 s20, s36, s60                                // 00000000A90C: 85143C24
	v_readlane_b32 s82, v3, 3                                  // 00000000A910: D2890052 00010703
	s_and_b32 s82, s82, 0xffffff                               // 00000000A918: 8652FF52 00FFFFFF
	s_cmp_lt_u32 s82, s66                                      // 00000000A920: BF0A4252
	s_cselect_b32 s21, s36, s60                                // 00000000A924: 85153C24
	s_mov_b64 exec, s[20:21]                                   // 00000000A928: BEFE0114
	global_atomic_add_f32 v6, v91, s[8:9] offset:8             // 00000000A92C: DD348008 00085B06
	global_atomic_add_f32 v6, v95, s[8:9] offset:264           // 00000000A934: DD348108 00085F06
	s_mov_b64 exec, s[36:37]                                   // 00000000A93C: BEFE0124
	v_mov_b32_e32 v6, v48                                      // 00000000A940: 7E0C0330
	s_mov_b64 s[60:61], 0                                      // 00000000A944: BEBC0180
	v_readlane_b32 s82, v3, 4                                  // 00000000A948: D2890052 00010903
	s_and_b32 s82, s82, 0xffffff                               // 00000000A950: 8652FF52 00FFFFFF
	s_cmp_lt_u32 s82, s66                                      // 00000000A958: BF0A4252
	s_cselect_b32 s20, s36, s60                                // 00000000A95C: 85143C24
	v_readlane_b32 s82, v3, 5                                  // 00000000A960: D2890052 00010B03
	s_and_b32 s82, s82, 0xffffff                               // 00000000A968: 8652FF52 00FFFFFF
	s_cmp_lt_u32 s82, s66                                      // 00000000A970: BF0A4252
	s_cselect_b32 s21, s36, s60                                // 00000000A974: 85153C24
	s_mov_b64 exec, s[20:21]                                   // 00000000A978: BEFE0114
	global_atomic_add_f32 v6, v98, s[8:9] offset:8             // 00000000A97C: DD348008 00086206
	global_atomic_add_f32 v6, v102, s[8:9] offset:264          // 00000000A984: DD348108 00086606
	s_mov_b64 exec, s[36:37]                                   // 00000000A98C: BEFE0124
	v_mov_b32_e32 v6, v49                                      // 00000000A990: 7E0C0331
	s_mov_b64 s[60:61], 0                                      // 00000000A994: BEBC0180
	v_readlane_b32 s82, v3, 6                                  // 00000000A998: D2890052 00010D03
	s_and_b32 s82, s82, 0xffffff                               // 00000000A9A0: 8652FF52 00FFFFFF
	s_cmp_lt_u32 s82, s66                                      // 00000000A9A8: BF0A4252
	s_cselect_b32 s20, s36, s60                                // 00000000A9AC: 85143C24
	v_readlane_b32 s82, v3, 7                                  // 00000000A9B0: D2890052 00010F03
	s_and_b32 s82, s82, 0xffffff                               // 00000000A9B8: 8652FF52 00FFFFFF
	s_cmp_lt_u32 s82, s66                                      // 00000000A9C0: BF0A4252
	s_cselect_b32 s21, s36, s60                                // 00000000A9C4: 85153C24
	s_mov_b64 exec, s[20:21]                                   // 00000000A9C8: BEFE0114
	global_atomic_add_f32 v6, v99, s[8:9] offset:8             // 00000000A9CC: DD348008 00086306
	global_atomic_add_f32 v6, v103, s[8:9] offset:264          // 00000000A9D4: DD348108 00086706
	s_mov_b64 exec, s[36:37]                                   // 00000000A9DC: BEFE0124
	v_mov_b32_e32 v6, v50                                      // 00000000A9E0: 7E0C0332
	s_mov_b64 s[60:61], 0                                      // 00000000A9E4: BEBC0180
	v_readlane_b32 s82, v3, 8                                  // 00000000A9E8: D2890052 00011103
	s_and_b32 s82, s82, 0xffffff                               // 00000000A9F0: 8652FF52 00FFFFFF
	s_cmp_lt_u32 s82, s66                                      // 00000000A9F8: BF0A4252
	s_cselect_b32 s20, s36, s60                                // 00000000A9FC: 85143C24
	v_readlane_b32 s82, v3, 9                                  // 00000000AA00: D2890052 00011303
	s_and_b32 s82, s82, 0xffffff                               // 00000000AA08: 8652FF52 00FFFFFF
	s_cmp_lt_u32 s82, s66                                      // 00000000AA10: BF0A4252
	s_cselect_b32 s21, s36, s60                                // 00000000AA14: 85153C24
	s_mov_b64 exec, s[20:21]                                   // 00000000AA18: BEFE0114
	global_atomic_add_f32 v6, v106, s[8:9] offset:8            // 00000000AA1C: DD348008 00086A06
	global_atomic_add_f32 v6, v110, s[8:9] offset:264          // 00000000AA24: DD348108 00086E06
	s_mov_b64 exec, s[36:37]                                   // 00000000AA2C: BEFE0124
	v_mov_b32_e32 v6, v51                                      // 00000000AA30: 7E0C0333
	s_mov_b64 s[60:61], 0                                      // 00000000AA34: BEBC0180
	v_readlane_b32 s82, v3, 10                                 // 00000000AA38: D2890052 00011503
	s_and_b32 s82, s82, 0xffffff                               // 00000000AA40: 8652FF52 00FFFFFF
	s_cmp_lt_u32 s82, s66                                      // 00000000AA48: BF0A4252
	s_cselect_b32 s20, s36, s60                                // 00000000AA4C: 85143C24
	v_readlane_b32 s82, v3, 11                                 // 00000000AA50: D2890052 00011703
	s_and_b32 s82, s82, 0xffffff                               // 00000000AA58: 8652FF52 00FFFFFF
	s_cmp_lt_u32 s82, s66                                      // 00000000AA60: BF0A4252
	s_cselect_b32 s21, s36, s60                                // 00000000AA64: 85153C24
	s_mov_b64 exec, s[20:21]                                   // 00000000AA68: BEFE0114
	global_atomic_add_f32 v6, v107, s[8:9] offset:8            // 00000000AA6C: DD348008 00086B06
	global_atomic_add_f32 v6, v111, s[8:9] offset:264          // 00000000AA74: DD348108 00086F06
	s_mov_b64 exec, s[36:37]                                   // 00000000AA7C: BEFE0124
	v_mov_b32_e32 v6, v52                                      // 00000000AA80: 7E0C0334
	s_mov_b64 s[60:61], 0                                      // 00000000AA84: BEBC0180
	v_readlane_b32 s82, v3, 12                                 // 00000000AA88: D2890052 00011903
	s_and_b32 s82, s82, 0xffffff                               // 00000000AA90: 8652FF52 00FFFFFF
	s_cmp_lt_u32 s82, s66                                      // 00000000AA98: BF0A4252
	s_cselect_b32 s20, s36, s60                                // 00000000AA9C: 85143C24
	v_readlane_b32 s82, v3, 13                                 // 00000000AAA0: D2890052 00011B03
	s_and_b32 s82, s82, 0xffffff                               // 00000000AAA8: 8652FF52 00FFFFFF
	s_cmp_lt_u32 s82, s66                                      // 00000000AAB0: BF0A4252
	s_cselect_b32 s21, s36, s60                                // 00000000AAB4: 85153C24
	s_mov_b64 exec, s[20:21]                                   // 00000000AAB8: BEFE0114
	global_atomic_add_f32 v6, v114, s[8:9] offset:8            // 00000000AABC: DD348008 00087206
	global_atomic_add_f32 v6, v118, s[8:9] offset:264          // 00000000AAC4: DD348108 00087606
	s_mov_b64 exec, s[36:37]                                   // 00000000AACC: BEFE0124
	v_mov_b32_e32 v6, v53                                      // 00000000AAD0: 7E0C0335
	s_mov_b64 s[60:61], 0                                      // 00000000AAD4: BEBC0180
	v_readlane_b32 s82, v3, 14                                 // 00000000AAD8: D2890052 00011D03
	s_and_b32 s82, s82, 0xffffff                               // 00000000AAE0: 8652FF52 00FFFFFF
	s_cmp_lt_u32 s82, s66                                      // 00000000AAE8: BF0A4252
	s_cselect_b32 s20, s36, s60                                // 00000000AAEC: 85143C24
	v_readlane_b32 s82, v3, 15                                 // 00000000AAF0: D2890052 00011F03
	s_and_b32 s82, s82, 0xffffff                               // 00000000AAF8: 8652FF52 00FFFFFF
	s_cmp_lt_u32 s82, s66                                      // 00000000AB00: BF0A4252
	s_cselect_b32 s21, s36, s60                                // 00000000AB04: 85153C24
	s_mov_b64 exec, s[20:21]                                   // 00000000AB08: BEFE0114
	global_atomic_add_f32 v6, v115, s[8:9] offset:8            // 00000000AB0C: DD348008 00087306
	global_atomic_add_f32 v6, v119, s[8:9] offset:264          // 00000000AB14: DD348108 00087706
	s_mov_b64 exec, s[36:37]                                   // 00000000AB1C: BEFE0124
	s_branch label_204C                                        // 00000000AB20: BF820000

000000000000ab24 <label_204C>:
	s_waitcnt vmcnt(0) expcnt(0) lgkmcnt(0)                    // 00000000AB24: BF8C0000
	s_endpgm                                                   // 00000000AB28: BF810000
